;; amdgpu-corpus repo=ROCm/rocFFT kind=compiled arch=gfx906 opt=O3
	.text
	.amdgcn_target "amdgcn-amd-amdhsa--gfx906"
	.amdhsa_code_object_version 6
	.protected	bluestein_single_fwd_len3072_dim1_half_op_CI_CI ; -- Begin function bluestein_single_fwd_len3072_dim1_half_op_CI_CI
	.globl	bluestein_single_fwd_len3072_dim1_half_op_CI_CI
	.p2align	8
	.type	bluestein_single_fwd_len3072_dim1_half_op_CI_CI,@function
bluestein_single_fwd_len3072_dim1_half_op_CI_CI: ; @bluestein_single_fwd_len3072_dim1_half_op_CI_CI
; %bb.0:
	s_load_dwordx4 s[16:19], s[4:5], 0x28
	s_mov_b32 s7, 0
	s_waitcnt lgkmcnt(0)
	v_mov_b32_e32 v1, s16
	v_mov_b32_e32 v2, s17
	v_cmp_lt_u64_e32 vcc, s[6:7], v[1:2]
	s_and_saveexec_b64 s[0:1], vcc
	s_cbranch_execz .LBB0_2
; %bb.1:
	s_load_dwordx4 s[8:11], s[4:5], 0x18
	s_load_dwordx4 s[0:3], s[4:5], 0x0
	v_mov_b32_e32 v38, s7
	v_mov_b32_e32 v37, s6
	;; [unrolled: 1-line block ×3, first 2 shown]
	s_waitcnt lgkmcnt(0)
	s_load_dwordx4 s[12:15], s[8:9], 0x0
	v_lshlrev_b32_e32 v47, 2, v0
	global_load_dword v53, v47, s[0:1]
	global_load_dword v52, v47, s[0:1] offset:2048
	v_or_b32_e32 v54, 0x1000, v47
	s_waitcnt lgkmcnt(0)
	v_mad_u64_u32 v[1:2], s[6:7], s14, v37, 0
	v_mad_u64_u32 v[3:4], s[6:7], s12, v0, 0
	v_or_b32_e32 v55, 0x1800, v47
	v_or_b32_e32 v56, 0x2000, v47
	v_mad_u64_u32 v[5:6], s[6:7], s15, v37, v[2:3]
	v_mov_b32_e32 v45, 0xffffdc00
	v_or_b32_e32 v58, 0x2800, v47
	v_mad_u64_u32 v[6:7], s[6:7], s13, v0, v[4:5]
	v_mov_b32_e32 v2, v5
	v_lshlrev_b64 v[1:2], 2, v[1:2]
	v_mov_b32_e32 v4, v6
	v_add_co_u32_e32 v5, vcc, s18, v1
	v_addc_co_u32_e32 v6, vcc, v8, v2, vcc
	v_lshlrev_b64 v[1:2], 2, v[3:4]
	s_add_u32 s6, s0, 0x3000
	v_add_co_u32_e32 v1, vcc, v5, v1
	v_addc_co_u32_e32 v2, vcc, v6, v2, vcc
	s_addc_u32 s7, s1, 0
	global_load_dword v5, v[1:2], off
	s_lshl_b64 s[8:9], s[12:13], 11
	v_mov_b32_e32 v6, s9
	v_add_co_u32_e32 v1, vcc, s8, v1
	v_addc_co_u32_e32 v2, vcc, v2, v6, vcc
	v_add_co_u32_e32 v3, vcc, s8, v1
	v_addc_co_u32_e32 v4, vcc, v2, v6, vcc
	global_load_dword v7, v[1:2], off
	global_load_dword v8, v[3:4], off
	global_load_dword v51, v54, s[0:1]
	global_load_dword v50, v55, s[0:1]
	;; [unrolled: 1-line block ×4, first 2 shown]
	v_add_co_u32_e32 v1, vcc, s8, v3
	v_addc_co_u32_e32 v2, vcc, v4, v6, vcc
	global_load_dword v3, v[1:2], off
	v_add_co_u32_e32 v1, vcc, s8, v1
	v_addc_co_u32_e32 v2, vcc, v2, v6, vcc
	global_load_dword v4, v[1:2], off
	;; [unrolled: 3-line block ×3, first 2 shown]
	v_mad_u64_u32 v[1:2], s[14:15], s12, v45, v[1:2]
	s_mul_i32 s9, s13, 0xffffdc00
	s_sub_i32 s9, s9, s12
	v_add_u32_e32 v2, s9, v2
	global_load_dword v10, v[1:2], off
	global_load_dword v44, v47, s[0:1] offset:3072
	global_load_dword v46, v47, s[0:1] offset:1024
	v_add_co_u32_e32 v1, vcc, s8, v1
	v_addc_co_u32_e32 v2, vcc, v2, v6, vcc
	global_load_dword v11, v[1:2], off
	v_add_co_u32_e32 v1, vcc, s8, v1
	v_addc_co_u32_e32 v2, vcc, v2, v6, vcc
	global_load_dword v12, v[1:2], off
	v_or_b32_e32 v60, 0x1400, v47
	global_load_dword v43, v60, s[0:1]
	v_add_co_u32_e32 v1, vcc, s8, v1
	v_addc_co_u32_e32 v2, vcc, v2, v6, vcc
	global_load_dword v13, v[1:2], off
	v_or_b32_e32 v61, 0x1c00, v47
	global_load_dword v42, v61, s[0:1]
	;; [unrolled: 5-line block ×4, first 2 shown]
	s_load_dwordx4 s[8:11], s[10:11], 0x0
	s_movk_i32 s0, 0x3aee
	s_mov_b32 s1, 0xffff
	s_mov_b32 s12, 0xbaee3aee
	v_or_b32_e32 v38, 0x100, v0
	v_mul_lo_u16_e32 v19, 0xab, v0
	v_mov_b32_e32 v76, s3
	v_or_b32_e32 v23, 0x200, v0
	v_mul_u32_u24_e32 v25, 0x2aab, v23
	v_mul_u32_u24_e32 v32, 0xaab, v38
	s_waitcnt vmcnt(21)
	v_lshrrev_b32_e32 v2, 16, v5
	v_mul_f16_sdwa v6, v53, v2 dst_sel:DWORD dst_unused:UNUSED_PAD src0_sel:WORD_1 src1_sel:DWORD
	v_fma_f16 v6, v53, v5, v6
	v_mul_f16_sdwa v5, v53, v5 dst_sel:DWORD dst_unused:UNUSED_PAD src0_sel:WORD_1 src1_sel:DWORD
	v_fma_f16 v2, v53, v2, -v5
	v_pack_b32_f16 v2, v6, v2
	v_mul_u32_u24_e32 v35, 0xaab, v23
	v_mul_u32_u24_e32 v75, 0x2ab, v23
	s_load_dwordx2 s[4:5], s[4:5], 0x38
	s_waitcnt vmcnt(20)
	v_lshrrev_b32_e32 v5, 16, v7
	v_mul_f16_sdwa v6, v52, v5 dst_sel:DWORD dst_unused:UNUSED_PAD src0_sel:WORD_1 src1_sel:DWORD
	v_fma_f16 v6, v52, v7, v6
	v_mul_f16_sdwa v7, v52, v7 dst_sel:DWORD dst_unused:UNUSED_PAD src0_sel:WORD_1 src1_sel:DWORD
	v_fma_f16 v5, v52, v5, -v7
	v_pack_b32_f16 v5, v6, v5
	s_waitcnt vmcnt(19)
	v_lshrrev_b32_e32 v6, 16, v8
	s_waitcnt vmcnt(18)
	v_mul_f16_sdwa v7, v51, v6 dst_sel:DWORD dst_unused:UNUSED_PAD src0_sel:WORD_1 src1_sel:DWORD
	v_fma_f16 v7, v51, v8, v7
	v_mul_f16_sdwa v8, v51, v8 dst_sel:DWORD dst_unused:UNUSED_PAD src0_sel:WORD_1 src1_sel:DWORD
	v_fma_f16 v6, v51, v6, -v8
	v_pack_b32_f16 v6, v7, v6
	s_waitcnt vmcnt(14)
	v_lshrrev_b32_e32 v7, 16, v3
	v_mul_f16_sdwa v8, v50, v7 dst_sel:DWORD dst_unused:UNUSED_PAD src0_sel:WORD_1 src1_sel:DWORD
	v_fma_f16 v8, v50, v3, v8
	v_mul_f16_sdwa v3, v50, v3 dst_sel:DWORD dst_unused:UNUSED_PAD src0_sel:WORD_1 src1_sel:DWORD
	v_fma_f16 v3, v50, v7, -v3
	s_waitcnt vmcnt(13)
	v_lshrrev_b32_e32 v7, 16, v4
	v_pack_b32_f16 v3, v8, v3
	v_mul_f16_sdwa v8, v49, v7 dst_sel:DWORD dst_unused:UNUSED_PAD src0_sel:WORD_1 src1_sel:DWORD
	v_fma_f16 v8, v49, v4, v8
	v_mul_f16_sdwa v4, v49, v4 dst_sel:DWORD dst_unused:UNUSED_PAD src0_sel:WORD_1 src1_sel:DWORD
	v_fma_f16 v4, v49, v7, -v4
	s_waitcnt vmcnt(12)
	v_lshrrev_b32_e32 v7, 16, v9
	v_pack_b32_f16 v4, v8, v4
	v_mul_f16_sdwa v8, v48, v7 dst_sel:DWORD dst_unused:UNUSED_PAD src0_sel:WORD_1 src1_sel:DWORD
	v_fma_f16 v8, v48, v9, v8
	v_mul_f16_sdwa v9, v48, v9 dst_sel:DWORD dst_unused:UNUSED_PAD src0_sel:WORD_1 src1_sel:DWORD
	v_fma_f16 v7, v48, v7, -v9
	v_pack_b32_f16 v7, v8, v7
	s_waitcnt vmcnt(11)
	v_lshrrev_b32_e32 v8, 16, v10
	s_waitcnt vmcnt(9)
	v_mul_f16_sdwa v9, v46, v8 dst_sel:DWORD dst_unused:UNUSED_PAD src0_sel:WORD_1 src1_sel:DWORD
	v_fma_f16 v9, v46, v10, v9
	v_mul_f16_sdwa v10, v46, v10 dst_sel:DWORD dst_unused:UNUSED_PAD src0_sel:WORD_1 src1_sel:DWORD
	v_fma_f16 v8, v46, v8, -v10
	v_pack_b32_f16 v8, v9, v8
	ds_write2st64_b32 v47, v2, v8 offset1:4
	s_waitcnt vmcnt(8)
	v_lshrrev_b32_e32 v2, 16, v11
	v_mul_f16_sdwa v8, v44, v2 dst_sel:DWORD dst_unused:UNUSED_PAD src0_sel:WORD_1 src1_sel:DWORD
	v_mul_f16_sdwa v9, v44, v11 dst_sel:DWORD dst_unused:UNUSED_PAD src0_sel:WORD_1 src1_sel:DWORD
	v_fma_f16 v8, v44, v11, v8
	v_fma_f16 v2, v44, v2, -v9
	v_pack_b32_f16 v2, v8, v2
	ds_write2st64_b32 v47, v5, v2 offset0:8 offset1:12
	s_waitcnt vmcnt(7)
	v_lshrrev_b32_e32 v2, 16, v12
	s_waitcnt vmcnt(6)
	v_mul_f16_sdwa v5, v43, v2 dst_sel:DWORD dst_unused:UNUSED_PAD src0_sel:WORD_1 src1_sel:DWORD
	v_mul_f16_sdwa v8, v43, v12 dst_sel:DWORD dst_unused:UNUSED_PAD src0_sel:WORD_1 src1_sel:DWORD
	v_fma_f16 v5, v43, v12, v5
	v_fma_f16 v2, v43, v2, -v8
	v_pack_b32_f16 v2, v5, v2
	ds_write2st64_b32 v47, v6, v2 offset0:16 offset1:20
	s_waitcnt vmcnt(5)
	v_lshrrev_b32_e32 v2, 16, v13
	s_waitcnt vmcnt(4)
	;; [unrolled: 9-line block ×4, first 2 shown]
	v_mul_f16_sdwa v3, v40, v2 dst_sel:DWORD dst_unused:UNUSED_PAD src0_sel:WORD_1 src1_sel:DWORD
	v_fma_f16 v3, v40, v1, v3
	v_mul_f16_sdwa v1, v40, v1 dst_sel:DWORD dst_unused:UNUSED_PAD src0_sel:WORD_1 src1_sel:DWORD
	v_fma_f16 v1, v40, v2, -v1
	v_pack_b32_f16 v1, v3, v1
	ds_write2st64_b32 v47, v7, v1 offset0:40 offset1:44
	s_waitcnt lgkmcnt(0)
	s_barrier
	ds_read2st64_b32 v[1:2], v47 offset1:4
	ds_read2st64_b32 v[3:4], v47 offset0:16 offset1:20
	ds_read2st64_b32 v[5:6], v47 offset0:32 offset1:36
	;; [unrolled: 1-line block ×5, first 2 shown]
	s_waitcnt lgkmcnt(4)
	v_pk_add_f16 v13, v1, v3
	s_waitcnt lgkmcnt(3)
	v_pk_add_f16 v15, v13, v5
	v_pk_add_f16 v13, v3, v5
	v_pk_add_f16 v3, v3, v5 neg_lo:[0,1] neg_hi:[0,1]
	v_pk_fma_f16 v1, v13, 0.5, v1 op_sel_hi:[1,0,1] neg_lo:[1,0,0] neg_hi:[1,0,0]
	v_pk_mul_f16 v3, v3, s0 op_sel_hi:[1,0]
	v_pk_add_f16 v5, v1, v3 op_sel:[0,1] op_sel_hi:[1,0]
	v_pk_add_f16 v1, v1, v3 op_sel:[0,1] op_sel_hi:[1,0] neg_lo:[0,1] neg_hi:[0,1]
	s_waitcnt lgkmcnt(0)
	v_pk_add_f16 v3, v9, v11
	v_pk_fma_f16 v3, v3, 0.5, v7 op_sel_hi:[1,0,1] neg_lo:[1,0,0] neg_hi:[1,0,0]
	v_pk_add_f16 v13, v9, v11 neg_lo:[0,1] neg_hi:[0,1]
	v_pk_fma_f16 v14, v13, s0, v3 op_sel:[0,0,1] op_sel_hi:[1,0,0]
	v_pk_fma_f16 v3, v13, s0, v3 op_sel:[0,0,1] op_sel_hi:[1,0,0] neg_lo:[1,0,0] neg_hi:[1,0,0]
	v_lshrrev_b32_e32 v16, 16, v14
	v_bfi_b32 v13, s1, v14, v3
	v_mul_f16_e32 v14, 0x3aee, v3
	v_fma_f16 v17, v16, 0.5, v14
	v_mul_f16_e32 v14, 0xbaee, v16
	v_pk_add_f16 v7, v7, v9
	v_fma_f16 v3, v3, 0.5, v14
	v_pk_mul_f16 v14, v13, 0.5 op_sel_hi:[1,0]
	v_pk_add_f16 v7, v7, v11
	v_pk_fma_f16 v18, v13, s12, v14 op_sel:[0,0,1] op_sel_hi:[1,1,0] neg_lo:[0,0,1] neg_hi:[0,0,1]
	v_pk_add_f16 v13, v15, v7
	v_pk_add_f16 v16, v15, v7 neg_lo:[0,1] neg_hi:[0,1]
	v_bfi_b32 v7, s1, v1, v5
	v_add_f16_e32 v9, v5, v17
	v_add_f16_sdwa v11, v1, v3 dst_sel:DWORD dst_unused:UNUSED_PAD src0_sel:WORD_1 src1_sel:DWORD
	v_pk_add_f16 v15, v7, v18
	v_mul_u32_u24_e32 v7, 6, v0
	v_pack_b32_f16 v3, v3, v18
	v_pack_b32_f16 v14, v9, v11
	v_lshlrev_b32_e32 v59, 2, v7
	v_sub_f16_e32 v7, v5, v17
	v_sub_f16_sdwa v5, v5, v18 dst_sel:DWORD dst_unused:UNUSED_PAD src0_sel:WORD_1 src1_sel:WORD_1
	v_pk_add_f16 v1, v1, v3 op_sel:[1,0] op_sel_hi:[0,1] neg_lo:[0,1] neg_hi:[0,1]
	s_barrier
	ds_write2_b64 v59, v[13:14], v[15:16] offset1:1
	v_alignbit_b32 v14, v5, v1, 16
	v_pack_b32_f16 v13, v7, v1
	v_mul_u32_u24_e32 v1, 6, v38
	v_lshlrev_b32_e32 v57, 2, v1
	v_pk_add_f16 v1, v2, v4
	v_pk_add_f16 v5, v1, v6
	;; [unrolled: 1-line block ×5, first 2 shown]
	v_pk_add_f16 v3, v4, v6 neg_lo:[0,1] neg_hi:[0,1]
	v_pk_fma_f16 v2, v1, 0.5, v2 op_sel_hi:[1,0,1] neg_lo:[1,0,0] neg_hi:[1,0,0]
	v_pk_mul_f16 v3, v3, s0 op_sel_hi:[1,0]
	v_pk_add_f16 v4, v2, v3 op_sel:[0,1] op_sel_hi:[1,0]
	v_pk_add_f16 v6, v2, v3 op_sel:[0,1] op_sel_hi:[1,0] neg_lo:[0,1] neg_hi:[0,1]
	v_pk_add_f16 v3, v10, v12
	v_pk_fma_f16 v3, v3, 0.5, v8 op_sel_hi:[1,0,1] neg_lo:[1,0,0] neg_hi:[1,0,0]
	v_pk_add_f16 v8, v10, v12 neg_lo:[0,1] neg_hi:[0,1]
	v_pk_fma_f16 v9, v8, s0, v3 op_sel:[0,0,1] op_sel_hi:[1,0,0]
	v_pk_fma_f16 v3, v8, s0, v3 op_sel:[0,0,1] op_sel_hi:[1,0,0] neg_lo:[1,0,0] neg_hi:[1,0,0]
	v_lshrrev_b32_e32 v10, 16, v9
	v_bfi_b32 v8, s1, v9, v3
	v_mul_f16_e32 v9, 0x3aee, v3
	v_fma_f16 v9, v10, 0.5, v9
	v_mul_f16_e32 v10, 0xbaee, v10
	v_fma_f16 v10, v3, 0.5, v10
	v_pk_mul_f16 v3, v8, 0.5 op_sel_hi:[1,0]
	v_bfi_b32 v2, s1, v6, v4
	v_add_f16_e32 v11, v4, v9
	v_add_f16_sdwa v12, v6, v10 dst_sel:DWORD dst_unused:UNUSED_PAD src0_sel:WORD_1 src1_sel:DWORD
	v_pk_fma_f16 v8, v8, s12, v3 op_sel:[0,0,1] op_sel_hi:[1,1,0] neg_lo:[0,0,1] neg_hi:[0,0,1]
	ds_write_b64 v59, v[13:14] offset:16
	v_pk_add_f16 v1, v5, v7
	v_pk_add_f16 v3, v2, v8
	v_sub_f16_e32 v9, v4, v9
	v_sub_f16_sdwa v13, v4, v8 dst_sel:DWORD dst_unused:UNUSED_PAD src0_sel:WORD_1 src1_sel:WORD_1
	v_pk_add_f16 v4, v5, v7 neg_lo:[0,1] neg_hi:[0,1]
	v_pack_b32_f16 v2, v11, v12
	ds_write2_b64 v57, v[1:2], v[3:4] offset1:1
	v_pack_b32_f16 v1, v10, v8
	v_pk_add_f16 v1, v6, v1 op_sel:[1,0] op_sel_hi:[0,1] neg_lo:[0,1] neg_hi:[0,1]
	v_alignbit_b32 v2, v13, v1, 16
	v_pack_b32_f16 v1, v9, v1
	v_lshrrev_b16_e32 v7, 10, v19
	ds_write_b64 v57, v[1:2] offset:16
	v_mul_lo_u16_e32 v1, 6, v7
	v_sub_u16_e32 v1, v0, v1
	v_and_b32_e32 v8, 0xff, v1
	v_mad_u64_u32 v[1:2], s[12:13], v8, 12, s[2:3]
	s_waitcnt lgkmcnt(0)
	s_barrier
	global_load_dwordx3 v[1:3], v[1:2], off
	v_mul_u32_u24_e32 v18, 0x2aab, v38
	v_mov_b32_e32 v9, 6
	v_mul_lo_u16_sdwa v4, v18, v9 dst_sel:DWORD dst_unused:UNUSED_PAD src0_sel:WORD_1 src1_sel:DWORD
	v_sub_u16_e32 v22, v38, v4
	v_mul_lo_u16_e32 v4, 12, v22
	v_add_co_u32_e32 v4, vcc, s2, v4
	v_addc_co_u32_e32 v5, vcc, 0, v76, vcc
	global_load_dwordx3 v[4:6], v[4:5], off
	ds_read2st64_b32 v[10:11], v47 offset0:8 offset1:12
	ds_read2st64_b32 v[12:13], v47 offset0:24 offset1:28
	v_mul_u32_u24_e32 v7, 24, v7
	v_or_b32_e32 v24, v7, v8
	v_lshlrev_b32_e32 v64, 2, v24
	s_waitcnt lgkmcnt(1)
	v_lshrrev_b32_e32 v14, 16, v11
	s_waitcnt vmcnt(1)
	v_mul_f16_sdwa v7, v11, v1 dst_sel:DWORD dst_unused:UNUSED_PAD src0_sel:DWORD src1_sel:WORD_1
	v_fma_f16 v16, v14, v1, v7
	v_mul_f16_sdwa v7, v14, v1 dst_sel:DWORD dst_unused:UNUSED_PAD src0_sel:DWORD src1_sel:WORD_1
	v_fma_f16 v17, v11, v1, -v7
	s_waitcnt lgkmcnt(0)
	v_lshrrev_b32_e32 v7, 16, v12
	v_mul_f16_sdwa v8, v12, v2 dst_sel:DWORD dst_unused:UNUSED_PAD src0_sel:DWORD src1_sel:WORD_1
	v_fma_f16 v20, v7, v2, v8
	v_mul_f16_sdwa v7, v7, v2 dst_sel:DWORD dst_unused:UNUSED_PAD src0_sel:DWORD src1_sel:WORD_1
	v_fma_f16 v21, v12, v2, -v7
	v_mul_lo_u16_sdwa v7, v25, v9 dst_sel:DWORD dst_unused:UNUSED_PAD src0_sel:WORD_1 src1_sel:DWORD
	v_sub_u16_e32 v26, v23, v7
	v_mul_lo_u16_e32 v7, 12, v26
	v_add_co_u32_e32 v7, vcc, s2, v7
	v_addc_co_u32_e32 v8, vcc, 0, v76, vcc
	global_load_dwordx3 v[7:9], v[7:8], off
	ds_read2st64_b32 v[11:12], v47 offset0:32 offset1:36
	ds_read2st64_b32 v[14:15], v47 offset1:4
	s_waitcnt lgkmcnt(1)
	v_lshrrev_b32_e32 v27, 16, v12
	v_mul_f16_sdwa v28, v12, v3 dst_sel:DWORD dst_unused:UNUSED_PAD src0_sel:DWORD src1_sel:WORD_1
	v_fma_f16 v28, v27, v3, v28
	v_mul_f16_sdwa v27, v27, v3 dst_sel:DWORD dst_unused:UNUSED_PAD src0_sel:DWORD src1_sel:WORD_1
	v_fma_f16 v12, v12, v3, -v27
	s_waitcnt lgkmcnt(0)
	v_lshrrev_b32_e32 v27, 16, v14
	v_sub_f16_e32 v21, v14, v21
	v_sub_f16_e32 v20, v27, v20
	;; [unrolled: 1-line block ×4, first 2 shown]
	v_fma_f16 v27, v27, 2.0, -v20
	v_fma_f16 v17, v17, 2.0, -v12
	;; [unrolled: 1-line block ×4, first 2 shown]
	v_sub_f16_e32 v29, v14, v17
	v_sub_f16_e32 v30, v27, v16
	v_fma_f16 v14, v14, 2.0, -v29
	v_fma_f16 v16, v27, 2.0, -v30
	v_sub_f16_e32 v27, v21, v28
	v_add_f16_e32 v12, v20, v12
	v_pack_b32_f16 v14, v14, v16
	v_fma_f16 v16, v21, 2.0, -v27
	v_fma_f16 v17, v20, 2.0, -v12
	v_pack_b32_f16 v28, v16, v17
	ds_read2st64_b32 v[16:17], v47 offset0:16 offset1:20
	ds_read2st64_b32 v[20:21], v47 offset0:40 offset1:44
	s_waitcnt vmcnt(0) lgkmcnt(0)
	s_barrier
	ds_write2_b32 v64, v14, v28 offset1:6
	v_mov_b32_e32 v28, 24
	v_mul_lo_u16_sdwa v18, v18, v28 dst_sel:DWORD dst_unused:UNUSED_PAD src0_sel:WORD_1 src1_sel:DWORD
	v_pack_b32_f16 v14, v29, v30
	v_pack_b32_f16 v12, v27, v12
	v_or_b32_e32 v18, v18, v22
	v_lshrrev_b32_e32 v22, 16, v16
	v_mul_f16_sdwa v24, v16, v4 dst_sel:DWORD dst_unused:UNUSED_PAD src0_sel:DWORD src1_sel:WORD_1
	ds_write2_b32 v64, v14, v12 offset0:12 offset1:18
	v_lshrrev_b32_e32 v12, 16, v13
	v_fma_f16 v24, v22, v4, v24
	v_mul_f16_sdwa v22, v22, v4 dst_sel:DWORD dst_unused:UNUSED_PAD src0_sel:DWORD src1_sel:WORD_1
	v_mul_f16_sdwa v14, v12, v5 dst_sel:DWORD dst_unused:UNUSED_PAD src0_sel:DWORD src1_sel:WORD_1
	v_fma_f16 v16, v16, v4, -v22
	v_lshrrev_b32_e32 v22, 16, v20
	v_mul_f16_sdwa v27, v20, v6 dst_sel:DWORD dst_unused:UNUSED_PAD src0_sel:DWORD src1_sel:WORD_1
	v_fma_f16 v14, v13, v5, -v14
	v_mul_f16_sdwa v13, v13, v5 dst_sel:DWORD dst_unused:UNUSED_PAD src0_sel:DWORD src1_sel:WORD_1
	v_fma_f16 v27, v22, v6, v27
	v_mul_f16_sdwa v22, v22, v6 dst_sel:DWORD dst_unused:UNUSED_PAD src0_sel:DWORD src1_sel:WORD_1
	v_fma_f16 v12, v12, v5, v13
	v_sub_f16_e32 v13, v15, v14
	v_lshrrev_b32_e32 v14, 16, v15
	v_fma_f16 v20, v20, v6, -v22
	v_sub_f16_e32 v12, v14, v12
	v_sub_f16_e32 v20, v16, v20
	;; [unrolled: 1-line block ×3, first 2 shown]
	v_fma_f16 v15, v15, 2.0, -v13
	v_fma_f16 v14, v14, 2.0, -v12
	;; [unrolled: 1-line block ×4, first 2 shown]
	v_sub_f16_e32 v16, v15, v16
	v_sub_f16_e32 v24, v14, v24
	v_fma_f16 v15, v15, 2.0, -v16
	v_fma_f16 v14, v14, 2.0, -v24
	v_pack_b32_f16 v14, v15, v14
	v_sub_f16_e32 v15, v13, v22
	v_add_f16_e32 v20, v12, v20
	v_fma_f16 v13, v13, 2.0, -v15
	v_fma_f16 v12, v12, 2.0, -v20
	v_mov_b32_e32 v22, 2
	v_pack_b32_f16 v12, v13, v12
	v_lshlrev_b32_sdwa v65, v22, v18 dst_sel:DWORD dst_unused:UNUSED_PAD src0_sel:DWORD src1_sel:WORD_0
	ds_write2_b32 v65, v14, v12 offset1:6
	v_pack_b32_f16 v12, v16, v24
	v_pack_b32_f16 v13, v15, v20
	ds_write2_b32 v65, v12, v13 offset0:12 offset1:18
	v_lshrrev_b32_e32 v12, 16, v17
	v_mul_f16_sdwa v14, v17, v7 dst_sel:DWORD dst_unused:UNUSED_PAD src0_sel:DWORD src1_sel:WORD_1
	v_mul_f16_sdwa v13, v12, v7 dst_sel:DWORD dst_unused:UNUSED_PAD src0_sel:DWORD src1_sel:WORD_1
	v_fma_f16 v12, v12, v7, v14
	v_lshrrev_b32_e32 v14, 16, v11
	v_mul_f16_sdwa v15, v14, v8 dst_sel:DWORD dst_unused:UNUSED_PAD src0_sel:DWORD src1_sel:WORD_1
	v_fma_f16 v15, v11, v8, -v15
	v_mul_f16_sdwa v11, v11, v8 dst_sel:DWORD dst_unused:UNUSED_PAD src0_sel:DWORD src1_sel:WORD_1
	v_fma_f16 v11, v14, v8, v11
	v_lshrrev_b32_e32 v14, 16, v21
	v_fma_f16 v13, v17, v7, -v13
	v_mul_f16_sdwa v16, v14, v9 dst_sel:DWORD dst_unused:UNUSED_PAD src0_sel:DWORD src1_sel:WORD_1
	v_mul_f16_sdwa v17, v21, v9 dst_sel:DWORD dst_unused:UNUSED_PAD src0_sel:DWORD src1_sel:WORD_1
	v_fma_f16 v16, v21, v9, -v16
	v_fma_f16 v14, v14, v9, v17
	v_lshrrev_b32_e32 v17, 16, v10
	v_sub_f16_e32 v15, v10, v15
	v_sub_f16_e32 v11, v17, v11
	;; [unrolled: 1-line block ×4, first 2 shown]
	v_fma_f16 v10, v10, 2.0, -v15
	v_fma_f16 v17, v17, 2.0, -v11
	;; [unrolled: 1-line block ×4, first 2 shown]
	v_mul_lo_u16_sdwa v18, v25, v28 dst_sel:DWORD dst_unused:UNUSED_PAD src0_sel:WORD_1 src1_sel:DWORD
	v_sub_f16_e32 v13, v10, v13
	v_sub_f16_e32 v12, v17, v12
	;; [unrolled: 1-line block ×3, first 2 shown]
	v_add_f16_e32 v16, v11, v16
	v_or_b32_e32 v18, v18, v26
	v_fma_f16 v10, v10, 2.0, -v13
	v_fma_f16 v17, v17, 2.0, -v12
	;; [unrolled: 1-line block ×4, first 2 shown]
	v_pack_b32_f16 v10, v10, v17
	v_pack_b32_f16 v11, v15, v11
	v_lshlrev_b32_sdwa v66, v22, v18 dst_sel:DWORD dst_unused:UNUSED_PAD src0_sel:DWORD src1_sel:WORD_0
	ds_write2_b32 v66, v10, v11 offset1:6
	v_pack_b32_f16 v10, v13, v12
	v_pack_b32_f16 v11, v14, v16
	v_lshrrev_b16_e32 v16, 12, v19
	ds_write2_b32 v66, v10, v11 offset0:12 offset1:18
	v_mul_lo_u16_e32 v10, 24, v16
	v_sub_u16_e32 v10, v0, v10
	v_and_b32_e32 v17, 0xff, v10
	v_mad_u64_u32 v[10:11], s[12:13], v17, 12, s[2:3]
	s_waitcnt lgkmcnt(0)
	s_barrier
	global_load_dwordx3 v[10:12], v[10:11], off offset:72
	v_mul_lo_u16_sdwa v13, v32, v28 dst_sel:DWORD dst_unused:UNUSED_PAD src0_sel:WORD_1 src1_sel:DWORD
	v_sub_u16_e32 v33, v38, v13
	v_mul_lo_u16_e32 v13, 12, v33
	v_add_co_u32_e32 v13, vcc, s2, v13
	v_addc_co_u32_e32 v14, vcc, 0, v76, vcc
	global_load_dwordx3 v[13:15], v[13:14], off offset:72
	ds_read2st64_b32 v[20:21], v47 offset0:8 offset1:12
	ds_read2st64_b32 v[24:25], v47 offset0:24 offset1:28
	v_mul_u32_u24_e32 v16, 0x60, v16
	v_or_b32_e32 v34, v16, v17
	ds_read2st64_b32 v[26:27], v47 offset0:32 offset1:36
	s_waitcnt lgkmcnt(2)
	v_lshrrev_b32_e32 v16, 16, v21
	s_movk_i32 s12, 0x60
	v_mul_lo_u16_sdwa v32, v32, s12 dst_sel:DWORD dst_unused:UNUSED_PAD src0_sel:WORD_1 src1_sel:DWORD
	v_or_b32_e32 v32, v32, v33
	s_waitcnt lgkmcnt(0)
	v_lshrrev_b32_e32 v39, 16, v27
	s_waitcnt vmcnt(1)
	v_mul_f16_sdwa v17, v21, v10 dst_sel:DWORD dst_unused:UNUSED_PAD src0_sel:DWORD src1_sel:WORD_1
	v_fma_f16 v30, v16, v10, v17
	v_mul_f16_sdwa v16, v16, v10 dst_sel:DWORD dst_unused:UNUSED_PAD src0_sel:DWORD src1_sel:WORD_1
	v_fma_f16 v21, v21, v10, -v16
	v_lshrrev_b32_e32 v16, 16, v24
	v_mul_f16_sdwa v17, v24, v11 dst_sel:DWORD dst_unused:UNUSED_PAD src0_sel:DWORD src1_sel:WORD_1
	v_fma_f16 v31, v16, v11, v17
	v_mul_f16_sdwa v29, v16, v11 dst_sel:DWORD dst_unused:UNUSED_PAD src0_sel:DWORD src1_sel:WORD_1
	v_mul_lo_u16_sdwa v16, v35, v28 dst_sel:DWORD dst_unused:UNUSED_PAD src0_sel:WORD_1 src1_sel:DWORD
	v_sub_u16_e32 v36, v23, v16
	v_mul_lo_u16_e32 v16, 12, v36
	v_add_co_u32_e32 v16, vcc, s2, v16
	v_addc_co_u32_e32 v17, vcc, 0, v76, vcc
	global_load_dwordx3 v[16:18], v[16:17], off offset:72
	v_fma_f16 v24, v24, v11, -v29
	ds_read2st64_b32 v[28:29], v47 offset1:4
	v_mul_f16_sdwa v67, v27, v12 dst_sel:DWORD dst_unused:UNUSED_PAD src0_sel:DWORD src1_sel:WORD_1
	v_fma_f16 v67, v39, v12, v67
	v_mul_f16_sdwa v39, v39, v12 dst_sel:DWORD dst_unused:UNUSED_PAD src0_sel:DWORD src1_sel:WORD_1
	v_fma_f16 v27, v27, v12, -v39
	s_waitcnt lgkmcnt(0)
	v_lshrrev_b32_e32 v39, 16, v28
	v_sub_f16_e32 v24, v28, v24
	v_sub_f16_e32 v31, v39, v31
	;; [unrolled: 1-line block ×4, first 2 shown]
	v_fma_f16 v39, v39, 2.0, -v31
	v_fma_f16 v21, v21, 2.0, -v27
	;; [unrolled: 1-line block ×4, first 2 shown]
	v_sub_f16_e32 v21, v28, v21
	v_sub_f16_e32 v68, v39, v30
	;; [unrolled: 1-line block ×3, first 2 shown]
	v_add_f16_e32 v70, v31, v27
	v_fma_f16 v28, v28, 2.0, -v21
	v_fma_f16 v30, v39, 2.0, -v68
	;; [unrolled: 1-line block ×4, first 2 shown]
	v_pack_b32_f16 v39, v28, v30
	v_pack_b32_f16 v24, v24, v27
	ds_read2st64_b32 v[27:28], v47 offset0:16 offset1:20
	ds_read2st64_b32 v[30:31], v47 offset0:40 offset1:44
	v_lshlrev_b32_e32 v67, 2, v34
	s_waitcnt vmcnt(0) lgkmcnt(0)
	s_barrier
	ds_write2_b32 v67, v39, v24 offset1:24
	v_pack_b32_f16 v21, v21, v68
	v_pack_b32_f16 v24, v69, v70
	v_lshrrev_b32_e32 v33, 16, v27
	v_mul_f16_sdwa v34, v27, v13 dst_sel:DWORD dst_unused:UNUSED_PAD src0_sel:DWORD src1_sel:WORD_1
	ds_write2_b32 v67, v21, v24 offset0:48 offset1:72
	v_lshrrev_b32_e32 v21, 16, v25
	v_fma_f16 v34, v33, v13, v34
	v_mul_f16_sdwa v33, v33, v13 dst_sel:DWORD dst_unused:UNUSED_PAD src0_sel:DWORD src1_sel:WORD_1
	v_mul_f16_sdwa v24, v21, v14 dst_sel:DWORD dst_unused:UNUSED_PAD src0_sel:DWORD src1_sel:WORD_1
	v_fma_f16 v27, v27, v13, -v33
	v_lshrrev_b32_e32 v33, 16, v30
	v_mul_f16_sdwa v39, v30, v15 dst_sel:DWORD dst_unused:UNUSED_PAD src0_sel:DWORD src1_sel:WORD_1
	v_fma_f16 v24, v25, v14, -v24
	v_mul_f16_sdwa v25, v25, v14 dst_sel:DWORD dst_unused:UNUSED_PAD src0_sel:DWORD src1_sel:WORD_1
	v_fma_f16 v39, v33, v15, v39
	v_mul_f16_sdwa v33, v33, v15 dst_sel:DWORD dst_unused:UNUSED_PAD src0_sel:DWORD src1_sel:WORD_1
	v_fma_f16 v21, v21, v14, v25
	v_lshrrev_b32_e32 v25, 16, v29
	v_fma_f16 v30, v30, v15, -v33
	v_sub_f16_e32 v24, v29, v24
	v_sub_f16_e32 v21, v25, v21
	;; [unrolled: 1-line block ×4, first 2 shown]
	v_fma_f16 v29, v29, 2.0, -v24
	v_fma_f16 v25, v25, 2.0, -v21
	;; [unrolled: 1-line block ×4, first 2 shown]
	v_sub_f16_e32 v27, v29, v27
	v_sub_f16_e32 v34, v25, v34
	v_fma_f16 v29, v29, 2.0, -v27
	v_fma_f16 v25, v25, 2.0, -v34
	v_pack_b32_f16 v25, v29, v25
	v_sub_f16_e32 v29, v24, v33
	v_add_f16_e32 v30, v21, v30
	v_fma_f16 v24, v24, 2.0, -v29
	v_fma_f16 v21, v21, 2.0, -v30
	v_pack_b32_f16 v21, v24, v21
	v_lshlrev_b32_sdwa v68, v22, v32 dst_sel:DWORD dst_unused:UNUSED_PAD src0_sel:DWORD src1_sel:WORD_0
	ds_write2_b32 v68, v25, v21 offset1:24
	v_pack_b32_f16 v21, v27, v34
	v_pack_b32_f16 v24, v29, v30
	ds_write2_b32 v68, v21, v24 offset0:48 offset1:72
	v_lshrrev_b32_e32 v21, 16, v28
	v_mul_lo_u16_sdwa v30, v35, s12 dst_sel:DWORD dst_unused:UNUSED_PAD src0_sel:WORD_1 src1_sel:DWORD
	v_or_b32_e32 v30, v30, v36
	v_lshlrev_b32_sdwa v69, v22, v30 dst_sel:DWORD dst_unused:UNUSED_PAD src0_sel:DWORD src1_sel:WORD_0
	v_mul_u32_u24_e32 v36, 0x2ab, v38
	v_mul_f16_sdwa v25, v28, v16 dst_sel:DWORD dst_unused:UNUSED_PAD src0_sel:DWORD src1_sel:WORD_1
	v_mul_f16_sdwa v24, v21, v16 dst_sel:DWORD dst_unused:UNUSED_PAD src0_sel:DWORD src1_sel:WORD_1
	v_fma_f16 v21, v21, v16, v25
	v_lshrrev_b32_e32 v25, 16, v26
	v_mul_f16_sdwa v27, v25, v17 dst_sel:DWORD dst_unused:UNUSED_PAD src0_sel:DWORD src1_sel:WORD_1
	v_fma_f16 v27, v26, v17, -v27
	v_mul_f16_sdwa v26, v26, v17 dst_sel:DWORD dst_unused:UNUSED_PAD src0_sel:DWORD src1_sel:WORD_1
	v_fma_f16 v25, v25, v17, v26
	v_lshrrev_b32_e32 v26, 16, v31
	v_fma_f16 v24, v28, v16, -v24
	v_mul_f16_sdwa v28, v26, v18 dst_sel:DWORD dst_unused:UNUSED_PAD src0_sel:DWORD src1_sel:WORD_1
	v_mul_f16_sdwa v29, v31, v18 dst_sel:DWORD dst_unused:UNUSED_PAD src0_sel:DWORD src1_sel:WORD_1
	v_fma_f16 v28, v31, v18, -v28
	v_fma_f16 v26, v26, v18, v29
	v_lshrrev_b32_e32 v29, 16, v20
	v_sub_f16_e32 v27, v20, v27
	v_sub_f16_e32 v25, v29, v25
	;; [unrolled: 1-line block ×4, first 2 shown]
	v_fma_f16 v20, v20, 2.0, -v27
	v_fma_f16 v29, v29, 2.0, -v25
	v_fma_f16 v24, v24, 2.0, -v28
	v_fma_f16 v21, v21, 2.0, -v26
	v_sub_f16_e32 v24, v20, v24
	v_sub_f16_e32 v21, v29, v21
	;; [unrolled: 1-line block ×3, first 2 shown]
	v_add_f16_e32 v28, v25, v28
	v_fma_f16 v20, v20, 2.0, -v24
	v_fma_f16 v29, v29, 2.0, -v21
	v_fma_f16 v27, v27, 2.0, -v26
	v_fma_f16 v25, v25, 2.0, -v28
	v_pack_b32_f16 v20, v20, v29
	v_pack_b32_f16 v25, v27, v25
	ds_write2_b32 v69, v20, v25 offset1:24
	v_pack_b32_f16 v20, v24, v21
	v_pack_b32_f16 v21, v26, v28
	v_lshrrev_b16_e32 v28, 14, v19
	v_mul_lo_u16_e32 v19, 0x60, v28
	v_sub_u16_e32 v19, v0, v19
	v_and_b32_e32 v29, 0xff, v19
	ds_write2_b32 v69, v20, v21 offset0:48 offset1:72
	v_mad_u64_u32 v[19:20], s[14:15], v29, 12, s[2:3]
	s_waitcnt lgkmcnt(0)
	s_barrier
	global_load_dwordx3 v[19:21], v[19:20], off offset:360
	v_mul_lo_u16_sdwa v24, v36, s12 dst_sel:DWORD dst_unused:UNUSED_PAD src0_sel:WORD_1 src1_sel:DWORD
	v_sub_u16_e32 v39, v38, v24
	v_mul_lo_u16_e32 v24, 12, v39
	v_add_co_u32_e32 v24, vcc, s2, v24
	v_addc_co_u32_e32 v25, vcc, 0, v76, vcc
	global_load_dwordx3 v[25:27], v[24:25], off offset:360
	ds_read2st64_b32 v[31:32], v47 offset0:8 offset1:12
	v_mul_lo_u16_sdwa v24, v75, s12 dst_sel:DWORD dst_unused:UNUSED_PAD src0_sel:WORD_1 src1_sel:DWORD
	v_sub_u16_e32 v77, v23, v24
	v_mul_u32_u24_e32 v23, 0x180, v28
	v_or_b32_e32 v70, v23, v29
	ds_read2st64_b32 v[23:24], v47 offset0:24 offset1:28
	s_waitcnt lgkmcnt(1)
	v_lshrrev_b32_e32 v28, 16, v32
	ds_read2st64_b32 v[34:35], v47 offset1:4
	s_movk_i32 s12, 0x180
	v_lshlrev_b32_e32 v70, 2, v70
	v_mul_lo_u16_sdwa v36, v36, s12 dst_sel:DWORD dst_unused:UNUSED_PAD src0_sel:WORD_1 src1_sel:DWORD
	v_or_b32_e32 v36, v36, v39
	s_waitcnt vmcnt(1)
	v_mul_f16_sdwa v29, v32, v19 dst_sel:DWORD dst_unused:UNUSED_PAD src0_sel:DWORD src1_sel:WORD_1
	v_fma_f16 v71, v28, v19, v29
	v_mul_f16_sdwa v28, v28, v19 dst_sel:DWORD dst_unused:UNUSED_PAD src0_sel:DWORD src1_sel:WORD_1
	v_fma_f16 v72, v32, v19, -v28
	s_waitcnt lgkmcnt(1)
	v_lshrrev_b32_e32 v28, 16, v23
	v_mul_f16_sdwa v29, v23, v20 dst_sel:DWORD dst_unused:UNUSED_PAD src0_sel:DWORD src1_sel:WORD_1
	v_fma_f16 v73, v28, v20, v29
	v_mul_f16_sdwa v28, v28, v20 dst_sel:DWORD dst_unused:UNUSED_PAD src0_sel:DWORD src1_sel:WORD_1
	v_fma_f16 v23, v23, v20, -v28
	v_mul_lo_u16_e32 v28, 12, v77
	v_add_co_u32_e32 v28, vcc, s2, v28
	v_addc_co_u32_e32 v29, vcc, 0, v76, vcc
	global_load_dwordx3 v[28:30], v[28:29], off offset:360
	ds_read2st64_b32 v[32:33], v47 offset0:32 offset1:36
	s_waitcnt lgkmcnt(1)
	v_sub_f16_e32 v23, v34, v23
	s_waitcnt lgkmcnt(0)
	v_lshrrev_b32_e32 v74, 16, v33
	v_mul_f16_sdwa v78, v33, v21 dst_sel:DWORD dst_unused:UNUSED_PAD src0_sel:DWORD src1_sel:WORD_1
	v_fma_f16 v78, v74, v21, v78
	v_mul_f16_sdwa v74, v74, v21 dst_sel:DWORD dst_unused:UNUSED_PAD src0_sel:DWORD src1_sel:WORD_1
	v_fma_f16 v33, v33, v21, -v74
	v_lshrrev_b32_e32 v74, 16, v34
	v_sub_f16_e32 v73, v74, v73
	v_sub_f16_e32 v33, v72, v33
	;; [unrolled: 1-line block ×3, first 2 shown]
	v_fma_f16 v74, v74, 2.0, -v73
	v_fma_f16 v72, v72, 2.0, -v33
	;; [unrolled: 1-line block ×4, first 2 shown]
	v_sub_f16_e32 v72, v34, v72
	v_sub_f16_e32 v71, v74, v71
	;; [unrolled: 1-line block ×3, first 2 shown]
	v_add_f16_e32 v80, v73, v33
	v_fma_f16 v34, v34, 2.0, -v72
	v_fma_f16 v74, v74, 2.0, -v71
	;; [unrolled: 1-line block ×4, first 2 shown]
	v_pack_b32_f16 v79, v34, v74
	v_pack_b32_f16 v23, v23, v33
	ds_read2st64_b32 v[33:34], v47 offset0:16 offset1:20
	ds_read2st64_b32 v[73:74], v47 offset0:40 offset1:44
	s_waitcnt vmcnt(0) lgkmcnt(0)
	s_barrier
	ds_write2_b32 v70, v79, v23 offset1:96
	v_pack_b32_f16 v23, v72, v71
	v_pack_b32_f16 v72, v78, v80
	v_add_u32_e32 v71, 0x200, v70
	v_lshrrev_b32_e32 v39, 16, v33
	v_mul_f16_sdwa v78, v33, v25 dst_sel:DWORD dst_unused:UNUSED_PAD src0_sel:DWORD src1_sel:WORD_1
	ds_write2_b32 v71, v23, v72 offset0:64 offset1:160
	v_lshrrev_b32_e32 v23, 16, v24
	v_fma_f16 v78, v39, v25, v78
	v_mul_f16_sdwa v39, v39, v25 dst_sel:DWORD dst_unused:UNUSED_PAD src0_sel:DWORD src1_sel:WORD_1
	v_mul_f16_sdwa v72, v23, v26 dst_sel:DWORD dst_unused:UNUSED_PAD src0_sel:DWORD src1_sel:WORD_1
	v_fma_f16 v33, v33, v25, -v39
	v_lshrrev_b32_e32 v39, 16, v73
	v_mul_f16_sdwa v79, v73, v27 dst_sel:DWORD dst_unused:UNUSED_PAD src0_sel:DWORD src1_sel:WORD_1
	v_fma_f16 v72, v24, v26, -v72
	v_mul_f16_sdwa v24, v24, v26 dst_sel:DWORD dst_unused:UNUSED_PAD src0_sel:DWORD src1_sel:WORD_1
	v_fma_f16 v79, v39, v27, v79
	v_mul_f16_sdwa v39, v39, v27 dst_sel:DWORD dst_unused:UNUSED_PAD src0_sel:DWORD src1_sel:WORD_1
	v_fma_f16 v23, v23, v26, v24
	v_sub_f16_e32 v24, v35, v72
	v_lshrrev_b32_e32 v72, 16, v35
	v_fma_f16 v39, v73, v27, -v39
	v_sub_f16_e32 v23, v72, v23
	v_sub_f16_e32 v39, v33, v39
	;; [unrolled: 1-line block ×3, first 2 shown]
	v_fma_f16 v35, v35, 2.0, -v24
	v_fma_f16 v72, v72, 2.0, -v23
	;; [unrolled: 1-line block ×4, first 2 shown]
	v_sub_f16_e32 v33, v35, v33
	v_sub_f16_e32 v78, v72, v78
	;; [unrolled: 1-line block ×3, first 2 shown]
	v_add_f16_e32 v39, v23, v39
	v_fma_f16 v35, v35, 2.0, -v33
	v_fma_f16 v72, v72, 2.0, -v78
	;; [unrolled: 1-line block ×4, first 2 shown]
	v_pack_b32_f16 v35, v35, v72
	v_pack_b32_f16 v23, v24, v23
	v_lshlrev_b32_sdwa v72, v22, v36 dst_sel:DWORD dst_unused:UNUSED_PAD src0_sel:DWORD src1_sel:WORD_0
	ds_write2_b32 v72, v35, v23 offset1:96
	v_pack_b32_f16 v23, v33, v78
	v_pack_b32_f16 v24, v73, v39
	v_add_u32_e32 v73, 0x200, v72
	ds_write2_b32 v73, v23, v24 offset0:64 offset1:160
	v_lshrrev_b32_e32 v23, 16, v34
	v_mul_lo_u16_sdwa v39, v75, s12 dst_sel:DWORD dst_unused:UNUSED_PAD src0_sel:WORD_1 src1_sel:DWORD
	v_mul_f16_sdwa v33, v34, v28 dst_sel:DWORD dst_unused:UNUSED_PAD src0_sel:DWORD src1_sel:WORD_1
	v_mul_f16_sdwa v24, v23, v28 dst_sel:DWORD dst_unused:UNUSED_PAD src0_sel:DWORD src1_sel:WORD_1
	v_fma_f16 v23, v23, v28, v33
	v_lshrrev_b32_e32 v33, 16, v32
	v_fma_f16 v24, v34, v28, -v24
	v_mul_f16_sdwa v34, v33, v29 dst_sel:DWORD dst_unused:UNUSED_PAD src0_sel:DWORD src1_sel:WORD_1
	v_fma_f16 v34, v32, v29, -v34
	v_mul_f16_sdwa v32, v32, v29 dst_sel:DWORD dst_unused:UNUSED_PAD src0_sel:DWORD src1_sel:WORD_1
	v_fma_f16 v32, v33, v29, v32
	v_lshrrev_b32_e32 v33, 16, v74
	v_mul_f16_sdwa v35, v33, v30 dst_sel:DWORD dst_unused:UNUSED_PAD src0_sel:DWORD src1_sel:WORD_1
	v_mul_f16_sdwa v36, v74, v30 dst_sel:DWORD dst_unused:UNUSED_PAD src0_sel:DWORD src1_sel:WORD_1
	v_fma_f16 v35, v74, v30, -v35
	v_fma_f16 v33, v33, v30, v36
	v_lshrrev_b32_e32 v36, 16, v31
	v_or_b32_e32 v39, v39, v77
	v_sub_f16_e32 v34, v31, v34
	v_lshlrev_b32_sdwa v74, v22, v39 dst_sel:DWORD dst_unused:UNUSED_PAD src0_sel:DWORD src1_sel:WORD_0
	v_sub_f16_e32 v22, v36, v32
	v_sub_f16_e32 v35, v24, v35
	;; [unrolled: 1-line block ×3, first 2 shown]
	v_fma_f16 v31, v31, 2.0, -v34
	v_fma_f16 v32, v36, 2.0, -v22
	;; [unrolled: 1-line block ×4, first 2 shown]
	v_sub_f16_e32 v24, v31, v24
	v_sub_f16_e32 v23, v32, v23
	v_fma_f16 v31, v31, 2.0, -v24
	v_fma_f16 v32, v32, 2.0, -v23
	v_pack_b32_f16 v31, v31, v32
	v_sub_f16_e32 v32, v34, v33
	v_add_f16_e32 v33, v22, v35
	v_fma_f16 v34, v34, 2.0, -v32
	v_fma_f16 v22, v22, 2.0, -v33
	v_pack_b32_f16 v22, v34, v22
	ds_write2_b32 v74, v31, v22 offset1:96
	v_pack_b32_f16 v22, v24, v23
	v_pack_b32_f16 v23, v32, v33
	v_mad_u64_u32 v[31:32], s[12:13], v0, 12, s[2:3]
	v_add_u32_e32 v75, 0x200, v74
	ds_write2_b32 v75, v22, v23 offset0:64 offset1:160
	s_waitcnt lgkmcnt(0)
	s_barrier
	global_load_dwordx3 v[22:24], v[31:32], off offset:1512
	v_mov_b32_e32 v39, 0
	s_mov_b64 s[12:13], 0x180
	v_cmp_gt_u64_e32 vcc, s[12:13], v[38:39]
	v_add_u32_e32 v33, 0xffffff80, v0
	v_cndmask_b32_e32 v86, v33, v38, vcc
	v_mul_i32_i24_e32 v33, 12, v86
	v_mul_hi_i32_i24_e32 v34, 12, v86
	v_add_co_u32_e32 v33, vcc, s2, v33
	v_addc_co_u32_e32 v34, vcc, v76, v34, vcc
	global_load_dwordx3 v[34:36], v[33:34], off offset:1512
	ds_read2st64_b32 v[77:78], v47 offset0:8 offset1:12
	global_load_dwordx3 v[31:33], v[31:32], off offset:3048
	ds_read2st64_b32 v[79:80], v47 offset0:24 offset1:28
	s_mov_b64 s[12:13], 0x17f
	v_cmp_lt_u64_e32 vcc, s[12:13], v[38:39]
	s_waitcnt lgkmcnt(1)
	v_lshrrev_b32_e32 v81, 16, v78
	s_movk_i32 s3, 0x1000
	s_waitcnt vmcnt(2)
	v_mul_f16_sdwa v82, v78, v22 dst_sel:DWORD dst_unused:UNUSED_PAD src0_sel:DWORD src1_sel:WORD_1
	v_fma_f16 v83, v81, v22, v82
	v_mul_f16_sdwa v81, v81, v22 dst_sel:DWORD dst_unused:UNUSED_PAD src0_sel:DWORD src1_sel:WORD_1
	v_fma_f16 v84, v78, v22, -v81
	s_waitcnt lgkmcnt(0)
	v_lshrrev_b32_e32 v78, 16, v79
	ds_read2st64_b32 v[81:82], v47 offset0:32 offset1:36
	v_mul_f16_sdwa v85, v79, v23 dst_sel:DWORD dst_unused:UNUSED_PAD src0_sel:DWORD src1_sel:WORD_1
	v_fma_f16 v85, v78, v23, v85
	v_mul_f16_sdwa v78, v78, v23 dst_sel:DWORD dst_unused:UNUSED_PAD src0_sel:DWORD src1_sel:WORD_1
	v_fma_f16 v87, v79, v23, -v78
	ds_read2st64_b32 v[78:79], v47 offset1:4
	s_waitcnt lgkmcnt(1)
	v_lshrrev_b32_e32 v88, 16, v82
	v_mul_f16_sdwa v89, v82, v24 dst_sel:DWORD dst_unused:UNUSED_PAD src0_sel:DWORD src1_sel:WORD_1
	v_fma_f16 v89, v88, v24, v89
	v_mul_f16_sdwa v88, v88, v24 dst_sel:DWORD dst_unused:UNUSED_PAD src0_sel:DWORD src1_sel:WORD_1
	v_fma_f16 v82, v82, v24, -v88
	s_waitcnt lgkmcnt(0)
	v_lshrrev_b32_e32 v88, 16, v78
	v_sub_f16_e32 v87, v78, v87
	v_sub_f16_e32 v85, v88, v85
	;; [unrolled: 1-line block ×4, first 2 shown]
	v_fma_f16 v88, v88, 2.0, -v85
	v_fma_f16 v84, v84, 2.0, -v82
	;; [unrolled: 1-line block ×4, first 2 shown]
	v_sub_f16_e32 v90, v78, v84
	v_sub_f16_e32 v91, v88, v83
	v_fma_f16 v78, v78, 2.0, -v90
	v_fma_f16 v83, v88, 2.0, -v91
	v_sub_f16_e32 v88, v87, v89
	v_add_f16_e32 v89, v85, v82
	v_pack_b32_f16 v78, v78, v83
	v_fma_f16 v82, v87, 2.0, -v88
	v_fma_f16 v83, v85, 2.0, -v89
	v_pack_b32_f16 v87, v82, v83
	ds_read2st64_b32 v[82:83], v47 offset0:16 offset1:20
	ds_read2st64_b32 v[84:85], v47 offset0:40 offset1:44
	s_waitcnt vmcnt(0) lgkmcnt(0)
	s_barrier
	ds_write2st64_b32 v47, v78, v87 offset1:6
	v_pack_b32_f16 v78, v90, v91
	v_pack_b32_f16 v87, v88, v89
	ds_write2st64_b32 v47, v78, v87 offset0:12 offset1:18
	v_mov_b32_e32 v78, 0x600
	v_cndmask_b32_e32 v38, 0, v78, vcc
	v_lshrrev_b32_e32 v39, 16, v82
	v_mul_f16_sdwa v78, v82, v34 dst_sel:DWORD dst_unused:UNUSED_PAD src0_sel:DWORD src1_sel:WORD_1
	v_lshrrev_b32_e32 v87, 16, v80
	v_fma_f16 v78, v39, v34, v78
	v_mul_f16_sdwa v39, v39, v34 dst_sel:DWORD dst_unused:UNUSED_PAD src0_sel:DWORD src1_sel:WORD_1
	v_mul_f16_sdwa v88, v87, v35 dst_sel:DWORD dst_unused:UNUSED_PAD src0_sel:DWORD src1_sel:WORD_1
	v_or_b32_e32 v38, v38, v86
	v_fma_f16 v39, v82, v34, -v39
	v_lshrrev_b32_e32 v82, 16, v84
	v_mul_f16_sdwa v86, v84, v36 dst_sel:DWORD dst_unused:UNUSED_PAD src0_sel:DWORD src1_sel:WORD_1
	v_fma_f16 v88, v80, v35, -v88
	v_mul_f16_sdwa v80, v80, v35 dst_sel:DWORD dst_unused:UNUSED_PAD src0_sel:DWORD src1_sel:WORD_1
	v_fma_f16 v86, v82, v36, v86
	v_mul_f16_sdwa v82, v82, v36 dst_sel:DWORD dst_unused:UNUSED_PAD src0_sel:DWORD src1_sel:WORD_1
	v_fma_f16 v80, v87, v35, v80
	v_sub_f16_e32 v87, v79, v88
	v_lshrrev_b32_e32 v88, 16, v79
	v_fma_f16 v82, v84, v36, -v82
	v_sub_f16_e32 v80, v88, v80
	v_sub_f16_e32 v82, v39, v82
	;; [unrolled: 1-line block ×3, first 2 shown]
	v_fma_f16 v79, v79, 2.0, -v87
	v_fma_f16 v84, v88, 2.0, -v80
	;; [unrolled: 1-line block ×4, first 2 shown]
	v_sub_f16_e32 v39, v79, v39
	v_sub_f16_e32 v78, v84, v78
	v_fma_f16 v79, v79, 2.0, -v39
	v_fma_f16 v84, v84, 2.0, -v78
	v_pack_b32_f16 v79, v79, v84
	v_sub_f16_e32 v84, v87, v86
	v_add_f16_e32 v82, v80, v82
	v_fma_f16 v86, v87, 2.0, -v84
	v_fma_f16 v80, v80, 2.0, -v82
	v_pack_b32_f16 v80, v86, v80
	v_lshlrev_b32_e32 v38, 2, v38
	v_pack_b32_f16 v39, v39, v78
	v_pack_b32_f16 v78, v84, v82
	ds_write2st64_b32 v38, v79, v80 offset1:6
	ds_write2st64_b32 v38, v39, v78 offset0:12 offset1:18
	v_lshrrev_b32_e32 v39, 16, v83
	v_mul_f16_sdwa v79, v83, v31 dst_sel:DWORD dst_unused:UNUSED_PAD src0_sel:DWORD src1_sel:WORD_1
	v_mul_f16_sdwa v78, v39, v31 dst_sel:DWORD dst_unused:UNUSED_PAD src0_sel:DWORD src1_sel:WORD_1
	v_fma_f16 v39, v39, v31, v79
	v_lshrrev_b32_e32 v79, 16, v81
	v_mul_f16_sdwa v80, v79, v32 dst_sel:DWORD dst_unused:UNUSED_PAD src0_sel:DWORD src1_sel:WORD_1
	v_fma_f16 v80, v81, v32, -v80
	v_mul_f16_sdwa v81, v81, v32 dst_sel:DWORD dst_unused:UNUSED_PAD src0_sel:DWORD src1_sel:WORD_1
	v_fma_f16 v79, v79, v32, v81
	v_lshrrev_b32_e32 v81, 16, v85
	v_fma_f16 v78, v83, v31, -v78
	v_mul_f16_sdwa v82, v81, v33 dst_sel:DWORD dst_unused:UNUSED_PAD src0_sel:DWORD src1_sel:WORD_1
	v_mul_f16_sdwa v83, v85, v33 dst_sel:DWORD dst_unused:UNUSED_PAD src0_sel:DWORD src1_sel:WORD_1
	v_fma_f16 v82, v85, v33, -v82
	v_fma_f16 v81, v81, v33, v83
	v_lshrrev_b32_e32 v83, 16, v77
	v_sub_f16_e32 v80, v77, v80
	v_sub_f16_e32 v79, v83, v79
	;; [unrolled: 1-line block ×4, first 2 shown]
	v_fma_f16 v77, v77, 2.0, -v80
	v_fma_f16 v83, v83, 2.0, -v79
	;; [unrolled: 1-line block ×4, first 2 shown]
	v_sub_f16_e32 v78, v77, v78
	v_sub_f16_e32 v39, v83, v39
	;; [unrolled: 1-line block ×3, first 2 shown]
	v_add_f16_e32 v82, v79, v82
	v_fma_f16 v77, v77, 2.0, -v78
	v_fma_f16 v83, v83, 2.0, -v39
	;; [unrolled: 1-line block ×4, first 2 shown]
	v_pack_b32_f16 v77, v77, v83
	v_pack_b32_f16 v79, v80, v79
	ds_write2st64_b32 v47, v77, v79 offset0:26 offset1:32
	v_pack_b32_f16 v39, v78, v39
	v_pack_b32_f16 v77, v81, v82
	ds_write2st64_b32 v47, v39, v77 offset0:38 offset1:44
	v_add_co_u32_e32 v39, vcc, s2, v47
	v_addc_co_u32_e32 v76, vcc, 0, v76, vcc
	v_add_co_u32_e32 v81, vcc, s3, v39
	v_addc_co_u32_e32 v82, vcc, 0, v76, vcc
	s_waitcnt lgkmcnt(0)
	s_barrier
	global_load_dword v80, v[81:82], off offset:2024
	global_load_dword v79, v[81:82], off offset:3048
	;; [unrolled: 1-line block ×3, first 2 shown]
	s_movk_i32 s2, 0x2000
	v_add_co_u32_e32 v81, vcc, s2, v39
	v_addc_co_u32_e32 v82, vcc, 0, v76, vcc
	global_load_dword v78, v[81:82], off offset:1000
	global_load_dword v76, v[81:82], off offset:2024
	;; [unrolled: 1-line block ×3, first 2 shown]
	ds_read2st64_b32 v[81:82], v47 offset0:24 offset1:28
	s_mov_b32 s2, 0xb8003800
	s_waitcnt lgkmcnt(0)
	v_lshrrev_b32_e32 v83, 16, v81
	v_lshrrev_b32_e32 v86, 16, v82
	s_waitcnt vmcnt(5)
	v_mul_f16_sdwa v84, v81, v80 dst_sel:DWORD dst_unused:UNUSED_PAD src0_sel:DWORD src1_sel:WORD_1
	v_fma_f16 v85, v83, v80, v84
	v_mul_f16_sdwa v83, v83, v80 dst_sel:DWORD dst_unused:UNUSED_PAD src0_sel:DWORD src1_sel:WORD_1
	v_fma_f16 v81, v81, v80, -v83
	ds_read2st64_b32 v[83:84], v47 offset1:4
	s_waitcnt vmcnt(4)
	v_mul_f16_sdwa v87, v86, v79 dst_sel:DWORD dst_unused:UNUSED_PAD src0_sel:DWORD src1_sel:WORD_1
	v_fma_f16 v87, v82, v79, -v87
	v_mul_f16_sdwa v82, v82, v79 dst_sel:DWORD dst_unused:UNUSED_PAD src0_sel:DWORD src1_sel:WORD_1
	v_fma_f16 v82, v86, v79, v82
	s_waitcnt lgkmcnt(0)
	v_sub_f16_e32 v86, v83, v81
	v_lshrrev_b32_e32 v81, 16, v83
	v_lshrrev_b32_e32 v88, 16, v84
	v_sub_f16_e32 v85, v81, v85
	v_sub_f16_e32 v87, v84, v87
	v_fma_f16 v83, v83, 2.0, -v86
	v_fma_f16 v81, v81, 2.0, -v85
	v_sub_f16_e32 v89, v88, v82
	v_fma_f16 v84, v84, 2.0, -v87
	v_pack_b32_f16 v83, v83, v81
	v_fma_f16 v81, v88, 2.0, -v89
	v_pack_b32_f16 v84, v84, v81
	ds_read2st64_b32 v[81:82], v47 offset0:32 offset1:36
	ds_write2st64_b32 v47, v83, v84 offset1:4
	v_pack_b32_f16 v83, v86, v85
	v_pack_b32_f16 v84, v87, v89
	ds_write2st64_b32 v47, v83, v84 offset0:24 offset1:28
	s_waitcnt lgkmcnt(2)
	v_lshrrev_b32_e32 v83, 16, v81
	s_waitcnt vmcnt(3)
	v_mul_f16_sdwa v84, v81, v77 dst_sel:DWORD dst_unused:UNUSED_PAD src0_sel:DWORD src1_sel:WORD_1
	v_fma_f16 v85, v83, v77, v84
	v_mul_f16_sdwa v83, v83, v77 dst_sel:DWORD dst_unused:UNUSED_PAD src0_sel:DWORD src1_sel:WORD_1
	v_fma_f16 v81, v81, v77, -v83
	ds_read2st64_b32 v[83:84], v47 offset0:8 offset1:12
	v_lshrrev_b32_e32 v86, 16, v82
	s_waitcnt vmcnt(2)
	v_mul_f16_sdwa v87, v86, v78 dst_sel:DWORD dst_unused:UNUSED_PAD src0_sel:DWORD src1_sel:WORD_1
	v_fma_f16 v87, v82, v78, -v87
	v_mul_f16_sdwa v82, v82, v78 dst_sel:DWORD dst_unused:UNUSED_PAD src0_sel:DWORD src1_sel:WORD_1
	v_fma_f16 v82, v86, v78, v82
	s_waitcnt lgkmcnt(0)
	v_sub_f16_e32 v86, v83, v81
	v_lshrrev_b32_e32 v81, 16, v83
	v_lshrrev_b32_e32 v88, 16, v84
	v_sub_f16_e32 v85, v81, v85
	v_sub_f16_e32 v87, v84, v87
	v_fma_f16 v83, v83, 2.0, -v86
	v_fma_f16 v81, v81, 2.0, -v85
	v_sub_f16_e32 v89, v88, v82
	v_fma_f16 v84, v84, 2.0, -v87
	v_pack_b32_f16 v83, v83, v81
	v_fma_f16 v81, v88, 2.0, -v89
	v_pack_b32_f16 v84, v84, v81
	ds_read2st64_b32 v[81:82], v47 offset0:40 offset1:44
	ds_write2st64_b32 v47, v83, v84 offset0:8 offset1:12
	v_pack_b32_f16 v83, v86, v85
	v_pack_b32_f16 v84, v87, v89
	ds_write2st64_b32 v47, v83, v84 offset0:32 offset1:36
	s_waitcnt lgkmcnt(2)
	v_lshrrev_b32_e32 v83, 16, v81
	s_waitcnt vmcnt(1)
	v_mul_f16_sdwa v84, v81, v76 dst_sel:DWORD dst_unused:UNUSED_PAD src0_sel:DWORD src1_sel:WORD_1
	v_fma_f16 v85, v83, v76, v84
	v_mul_f16_sdwa v83, v83, v76 dst_sel:DWORD dst_unused:UNUSED_PAD src0_sel:DWORD src1_sel:WORD_1
	v_fma_f16 v81, v81, v76, -v83
	ds_read2st64_b32 v[83:84], v47 offset0:16 offset1:20
	v_lshrrev_b32_e32 v86, 16, v82
	s_waitcnt vmcnt(0)
	v_mul_f16_sdwa v87, v86, v39 dst_sel:DWORD dst_unused:UNUSED_PAD src0_sel:DWORD src1_sel:WORD_1
	v_fma_f16 v87, v82, v39, -v87
	v_mul_f16_sdwa v82, v82, v39 dst_sel:DWORD dst_unused:UNUSED_PAD src0_sel:DWORD src1_sel:WORD_1
	v_fma_f16 v82, v86, v39, v82
	s_waitcnt lgkmcnt(0)
	v_sub_f16_e32 v86, v84, v87
	v_lshrrev_b32_e32 v87, 16, v83
	v_sub_f16_e32 v81, v83, v81
	v_lshrrev_b32_e32 v88, 16, v84
	v_sub_f16_e32 v85, v87, v85
	v_fma_f16 v83, v83, 2.0, -v81
	v_fma_f16 v87, v87, 2.0, -v85
	v_sub_f16_e32 v82, v88, v82
	v_fma_f16 v84, v84, 2.0, -v86
	v_pack_b32_f16 v83, v83, v87
	v_fma_f16 v87, v88, 2.0, -v82
	v_pack_b32_f16 v84, v84, v87
	v_pack_b32_f16 v81, v81, v85
	v_pack_b32_f16 v82, v86, v82
	ds_write2st64_b32 v47, v83, v84 offset0:16 offset1:20
	ds_write2st64_b32 v47, v81, v82 offset0:40 offset1:44
	s_waitcnt lgkmcnt(0)
	s_barrier
	global_load_dword v81, v47, s[6:7]
	global_load_dword v82, v47, s[6:7] offset:1024
	global_load_dword v83, v56, s[6:7]
	global_load_dword v84, v58, s[6:7]
	;; [unrolled: 1-line block ×3, first 2 shown]
	global_load_dword v86, v47, s[6:7] offset:2048
	global_load_dword v87, v47, s[6:7] offset:3072
	global_load_dword v88, v60, s[6:7]
	global_load_dword v89, v55, s[6:7]
	;; [unrolled: 1-line block ×5, first 2 shown]
	ds_read2st64_b32 v[54:55], v47 offset1:4
	s_movk_i32 s6, 0x1ff
	s_movk_i32 s7, 0xffe
	s_waitcnt lgkmcnt(0)
	v_lshrrev_b32_e32 v58, 16, v54
	v_lshrrev_b32_e32 v61, 16, v55
	s_waitcnt vmcnt(11)
	v_mul_f16_sdwa v60, v54, v81 dst_sel:DWORD dst_unused:UNUSED_PAD src0_sel:DWORD src1_sel:WORD_1
	v_fma_f16 v60, v58, v81, v60
	v_mul_f16_sdwa v58, v58, v81 dst_sel:DWORD dst_unused:UNUSED_PAD src0_sel:DWORD src1_sel:WORD_1
	v_fma_f16 v58, v54, v81, -v58
	s_waitcnt vmcnt(10)
	v_mul_f16_sdwa v54, v61, v82 dst_sel:DWORD dst_unused:UNUSED_PAD src0_sel:DWORD src1_sel:WORD_1
	v_fma_f16 v62, v55, v82, -v54
	v_mul_f16_sdwa v63, v55, v82 dst_sel:DWORD dst_unused:UNUSED_PAD src0_sel:DWORD src1_sel:WORD_1
	ds_read2st64_b32 v[54:55], v47 offset0:8 offset1:12
	v_fma_f16 v61, v61, v82, v63
	v_pack_b32_f16 v58, v58, v60
	v_pack_b32_f16 v60, v62, v61
	ds_write2st64_b32 v47, v58, v60 offset1:4
	s_waitcnt lgkmcnt(1)
	v_lshrrev_b32_e32 v58, 16, v54
	s_waitcnt vmcnt(6)
	v_mul_f16_sdwa v60, v54, v86 dst_sel:DWORD dst_unused:UNUSED_PAD src0_sel:DWORD src1_sel:WORD_1
	v_fma_f16 v60, v58, v86, v60
	v_mul_f16_sdwa v58, v58, v86 dst_sel:DWORD dst_unused:UNUSED_PAD src0_sel:DWORD src1_sel:WORD_1
	v_lshrrev_b32_e32 v61, 16, v55
	v_fma_f16 v58, v54, v86, -v58
	s_waitcnt vmcnt(5)
	v_mul_f16_sdwa v54, v61, v87 dst_sel:DWORD dst_unused:UNUSED_PAD src0_sel:DWORD src1_sel:WORD_1
	v_fma_f16 v62, v55, v87, -v54
	v_mul_f16_sdwa v63, v55, v87 dst_sel:DWORD dst_unused:UNUSED_PAD src0_sel:DWORD src1_sel:WORD_1
	ds_read2st64_b32 v[54:55], v47 offset0:16 offset1:20
	v_fma_f16 v61, v61, v87, v63
	v_pack_b32_f16 v58, v58, v60
	v_pack_b32_f16 v60, v62, v61
	ds_write2st64_b32 v47, v58, v60 offset0:8 offset1:12
	s_waitcnt lgkmcnt(1)
	v_lshrrev_b32_e32 v58, 16, v54
	v_mul_f16_sdwa v60, v54, v85 dst_sel:DWORD dst_unused:UNUSED_PAD src0_sel:DWORD src1_sel:WORD_1
	v_fma_f16 v60, v58, v85, v60
	v_mul_f16_sdwa v58, v58, v85 dst_sel:DWORD dst_unused:UNUSED_PAD src0_sel:DWORD src1_sel:WORD_1
	v_lshrrev_b32_e32 v61, 16, v55
	v_fma_f16 v58, v54, v85, -v58
	s_waitcnt vmcnt(4)
	v_mul_f16_sdwa v54, v61, v88 dst_sel:DWORD dst_unused:UNUSED_PAD src0_sel:DWORD src1_sel:WORD_1
	v_fma_f16 v62, v55, v88, -v54
	v_mul_f16_sdwa v63, v55, v88 dst_sel:DWORD dst_unused:UNUSED_PAD src0_sel:DWORD src1_sel:WORD_1
	ds_read2st64_b32 v[54:55], v47 offset0:24 offset1:28
	v_fma_f16 v61, v61, v88, v63
	v_pack_b32_f16 v58, v58, v60
	v_pack_b32_f16 v60, v62, v61
	ds_write2st64_b32 v47, v58, v60 offset0:16 offset1:20
	s_waitcnt lgkmcnt(1)
	v_lshrrev_b32_e32 v58, 16, v54
	s_waitcnt vmcnt(3)
	v_mul_f16_sdwa v60, v54, v89 dst_sel:DWORD dst_unused:UNUSED_PAD src0_sel:DWORD src1_sel:WORD_1
	v_fma_f16 v60, v58, v89, v60
	v_mul_f16_sdwa v58, v58, v89 dst_sel:DWORD dst_unused:UNUSED_PAD src0_sel:DWORD src1_sel:WORD_1
	v_lshrrev_b32_e32 v61, 16, v55
	v_fma_f16 v58, v54, v89, -v58
	s_waitcnt vmcnt(2)
	v_mul_f16_sdwa v54, v61, v90 dst_sel:DWORD dst_unused:UNUSED_PAD src0_sel:DWORD src1_sel:WORD_1
	v_fma_f16 v62, v55, v90, -v54
	v_mul_f16_sdwa v63, v55, v90 dst_sel:DWORD dst_unused:UNUSED_PAD src0_sel:DWORD src1_sel:WORD_1
	ds_read2st64_b32 v[54:55], v47 offset0:32 offset1:36
	v_fma_f16 v61, v61, v90, v63
	v_pack_b32_f16 v58, v58, v60
	v_pack_b32_f16 v60, v62, v61
	ds_write2st64_b32 v47, v58, v60 offset0:24 offset1:28
	s_waitcnt lgkmcnt(1)
	v_lshrrev_b32_e32 v58, 16, v54
	v_mul_f16_sdwa v60, v54, v83 dst_sel:DWORD dst_unused:UNUSED_PAD src0_sel:DWORD src1_sel:WORD_1
	v_fma_f16 v60, v58, v83, v60
	v_mul_f16_sdwa v58, v58, v83 dst_sel:DWORD dst_unused:UNUSED_PAD src0_sel:DWORD src1_sel:WORD_1
	v_lshrrev_b32_e32 v61, 16, v55
	v_fma_f16 v58, v54, v83, -v58
	s_waitcnt vmcnt(1)
	v_mul_f16_sdwa v54, v61, v91 dst_sel:DWORD dst_unused:UNUSED_PAD src0_sel:DWORD src1_sel:WORD_1
	v_fma_f16 v62, v55, v91, -v54
	v_mul_f16_sdwa v63, v55, v91 dst_sel:DWORD dst_unused:UNUSED_PAD src0_sel:DWORD src1_sel:WORD_1
	ds_read2st64_b32 v[54:55], v47 offset0:40 offset1:44
	v_fma_f16 v61, v61, v91, v63
	v_pack_b32_f16 v58, v58, v60
	v_pack_b32_f16 v60, v62, v61
	ds_write2st64_b32 v47, v58, v60 offset0:32 offset1:36
	s_waitcnt lgkmcnt(1)
	v_lshrrev_b32_e32 v58, 16, v54
	v_mul_f16_sdwa v60, v54, v84 dst_sel:DWORD dst_unused:UNUSED_PAD src0_sel:DWORD src1_sel:WORD_1
	v_fma_f16 v60, v58, v84, v60
	v_mul_f16_sdwa v58, v58, v84 dst_sel:DWORD dst_unused:UNUSED_PAD src0_sel:DWORD src1_sel:WORD_1
	v_fma_f16 v54, v54, v84, -v58
	v_lshrrev_b32_e32 v58, 16, v55
	s_waitcnt vmcnt(0)
	v_mul_f16_sdwa v61, v58, v56 dst_sel:DWORD dst_unused:UNUSED_PAD src0_sel:DWORD src1_sel:WORD_1
	v_fma_f16 v61, v55, v56, -v61
	v_mul_f16_sdwa v55, v55, v56 dst_sel:DWORD dst_unused:UNUSED_PAD src0_sel:DWORD src1_sel:WORD_1
	v_fma_f16 v55, v58, v56, v55
	v_pack_b32_f16 v54, v54, v60
	v_pack_b32_f16 v55, v61, v55
	ds_write2st64_b32 v47, v54, v55 offset0:40 offset1:44
	s_waitcnt lgkmcnt(0)
	s_barrier
	ds_read2st64_b32 v[54:55], v47 offset0:16 offset1:20
	ds_read2st64_b32 v[60:61], v47 offset0:32 offset1:36
	ds_read2st64_b32 v[62:63], v47 offset1:4
	ds_read2st64_b32 v[81:82], v47 offset0:24 offset1:28
	ds_read2st64_b32 v[83:84], v47 offset0:40 offset1:44
	;; [unrolled: 1-line block ×3, first 2 shown]
	s_waitcnt lgkmcnt(0)
	s_barrier
	v_pk_add_f16 v56, v54, v60
	v_pk_fma_f16 v56, v56, 0.5, v62 op_sel_hi:[1,0,1] neg_lo:[1,0,0] neg_hi:[1,0,0]
	v_pk_add_f16 v58, v54, v60 neg_lo:[0,1] neg_hi:[0,1]
	v_pk_fma_f16 v91, v58, s0, v56 op_sel:[0,0,1] op_sel_hi:[1,0,0] neg_lo:[1,0,0] neg_hi:[1,0,0]
	v_pk_fma_f16 v56, v58, s0, v56 op_sel:[0,0,1] op_sel_hi:[1,0,0]
	v_pk_add_f16 v58, v81, v83
	v_pk_fma_f16 v58, v58, 0.5, v85 op_sel_hi:[1,0,1] neg_lo:[1,0,0] neg_hi:[1,0,0]
	v_pk_add_f16 v87, v81, v83 neg_lo:[0,1] neg_hi:[0,1]
	v_pk_fma_f16 v88, v87, s0, v58 op_sel:[0,0,1] op_sel_hi:[1,0,0]
	v_pk_fma_f16 v58, v87, s0, v58 op_sel:[0,0,1] op_sel_hi:[1,0,0] neg_lo:[1,0,0] neg_hi:[1,0,0]
	v_lshrrev_b32_e32 v87, 16, v58
	v_mul_f16_e32 v89, 0xbaee, v88
	v_fma_f16 v92, v87, 0.5, v89
	v_pk_mul_f16 v87, v58, s0 op_sel_hi:[1,0]
	v_pk_add_f16 v54, v62, v54
	v_pk_fma_f16 v93, v88, s2, v87 op_sel:[0,0,1] op_sel_hi:[1,1,0]
	v_pk_fma_f16 v94, v88, s2, v87 op_sel:[0,0,1] op_sel_hi:[1,1,0] neg_lo:[0,0,1] neg_hi:[0,0,1]
	v_lshrrev_b32_e32 v87, 16, v88
	v_mul_f16_e32 v58, -0.5, v58
	v_pk_add_f16 v54, v54, v60
	v_pk_add_f16 v60, v85, v81
	v_fma_f16 v58, v87, s0, v58
	v_pk_add_f16 v60, v60, v83
	v_bfi_b32 v62, s1, v93, v94
	v_pk_add_f16 v62, v56, v62
	v_add_f16_e32 v81, v91, v58
	v_pk_add_f16 v88, v54, v60 neg_lo:[0,1] neg_hi:[0,1]
	v_pk_add_f16 v89, v54, v60
	v_add_f16_sdwa v54, v91, v92 dst_sel:DWORD dst_unused:UNUSED_PAD src0_sel:WORD_1 src1_sel:DWORD
	v_alignbit_b32 v87, v81, v62, 16
	v_pack_b32_f16 v90, v54, v62
	v_pack_b32_f16 v54, v92, v93
	v_alignbit_b32 v60, v56, v91, 16
	v_alignbit_b32 v56, v91, v56, 16
	;; [unrolled: 1-line block ×3, first 2 shown]
	ds_write2_b64 v59, v[89:90], v[87:88] offset1:1
	v_pk_add_f16 v87, v60, v54 neg_lo:[0,1] neg_hi:[0,1]
	v_pk_add_f16 v88, v56, v58 neg_lo:[0,1] neg_hi:[0,1]
	v_pk_add_f16 v54, v63, v55
	ds_write_b64 v59, v[87:88] offset:16
	v_pk_add_f16 v56, v55, v61
	v_pk_add_f16 v58, v54, v61
	;; [unrolled: 1-line block ×4, first 2 shown]
	v_pk_add_f16 v55, v55, v61 neg_lo:[0,1] neg_hi:[0,1]
	v_pk_add_f16 v60, v82, v84 neg_lo:[0,1] neg_hi:[0,1]
	v_pk_add_f16 v61, v54, v84
	v_pk_fma_f16 v54, v56, 0.5, v63 op_sel_hi:[1,0,1] neg_lo:[1,0,0] neg_hi:[1,0,0]
	v_pk_fma_f16 v56, v59, 0.5, v86 op_sel_hi:[1,0,1] neg_lo:[1,0,0] neg_hi:[1,0,0]
	v_pk_fma_f16 v62, v55, s0, v54 op_sel:[0,0,1] op_sel_hi:[1,0,0] neg_lo:[1,0,0] neg_hi:[1,0,0]
	v_pk_fma_f16 v63, v55, s0, v54 op_sel:[0,0,1] op_sel_hi:[1,0,0]
	v_pk_fma_f16 v54, v60, s0, v56 op_sel:[0,0,1] op_sel_hi:[1,0,0]
	v_pk_fma_f16 v55, v60, s0, v56 op_sel:[0,0,1] op_sel_hi:[1,0,0] neg_lo:[1,0,0] neg_hi:[1,0,0]
	v_lshrrev_b32_e32 v56, 16, v55
	v_mul_f16_e32 v59, 0xbaee, v54
	v_fma_f16 v56, v56, 0.5, v59
	v_pk_mul_f16 v59, v55, s0 op_sel_hi:[1,0]
	v_pk_fma_f16 v60, v54, s2, v59 op_sel:[0,0,1] op_sel_hi:[1,1,0]
	v_pk_fma_f16 v81, v54, s2, v59 op_sel:[0,0,1] op_sel_hi:[1,1,0] neg_lo:[0,0,1] neg_hi:[0,0,1]
	v_lshrrev_b32_e32 v54, 16, v54
	v_mul_f16_e32 v55, -0.5, v55
	v_fma_f16 v82, v54, s0, v55
	v_bfi_b32 v54, s1, v60, v81
	v_pk_add_f16 v59, v63, v54
	v_add_f16_e32 v54, v62, v82
	v_pk_add_f16 v55, v58, v61 neg_lo:[0,1] neg_hi:[0,1]
	v_pk_add_f16 v58, v58, v61
	v_add_f16_sdwa v61, v62, v56 dst_sel:DWORD dst_unused:UNUSED_PAD src0_sel:WORD_1 src1_sel:DWORD
	v_alignbit_b32 v54, v54, v59, 16
	v_pack_b32_f16 v59, v61, v59
	ds_write2_b64 v57, v[58:59], v[54:55] offset1:1
	v_pack_b32_f16 v54, v56, v60
	v_alignbit_b32 v55, v63, v62, 16
	v_alignbit_b32 v56, v62, v63, 16
	v_alignbit_b32 v58, v82, v81, 16
	v_pk_add_f16 v54, v55, v54 neg_lo:[0,1] neg_hi:[0,1]
	v_pk_add_f16 v55, v56, v58 neg_lo:[0,1] neg_hi:[0,1]
	ds_write_b64 v57, v[54:55] offset:16
	s_waitcnt lgkmcnt(0)
	s_barrier
	ds_read2st64_b32 v[54:55], v47 offset0:16 offset1:20
	ds_read2st64_b32 v[56:57], v47 offset0:24 offset1:28
	s_mov_b32 s2, 0x55555555
	s_mov_b32 s3, 0x3f355555
	s_waitcnt lgkmcnt(1)
	v_lshrrev_b32_e32 v58, 16, v54
	v_mul_f16_sdwa v59, v4, v54 dst_sel:DWORD dst_unused:UNUSED_PAD src0_sel:WORD_1 src1_sel:DWORD
	v_fma_f16 v60, v4, v58, -v59
	v_mul_f16_sdwa v58, v4, v58 dst_sel:DWORD dst_unused:UNUSED_PAD src0_sel:WORD_1 src1_sel:DWORD
	v_fma_f16 v54, v4, v54, v58
	ds_read2st64_b32 v[58:59], v47 offset0:40 offset1:44
	s_waitcnt lgkmcnt(1)
	v_lshrrev_b32_e32 v4, 16, v57
	v_mul_f16_sdwa v61, v5, v57 dst_sel:DWORD dst_unused:UNUSED_PAD src0_sel:WORD_1 src1_sel:DWORD
	v_fma_f16 v61, v5, v4, -v61
	v_mul_f16_sdwa v4, v5, v4 dst_sel:DWORD dst_unused:UNUSED_PAD src0_sel:WORD_1 src1_sel:DWORD
	v_fma_f16 v57, v5, v57, v4
	s_waitcnt lgkmcnt(0)
	v_lshrrev_b32_e32 v4, 16, v58
	v_mul_f16_sdwa v5, v6, v58 dst_sel:DWORD dst_unused:UNUSED_PAD src0_sel:WORD_1 src1_sel:DWORD
	v_fma_f16 v62, v6, v4, -v5
	v_mul_f16_sdwa v4, v6, v4 dst_sel:DWORD dst_unused:UNUSED_PAD src0_sel:WORD_1 src1_sel:DWORD
	v_fma_f16 v58, v6, v58, v4
	v_lshrrev_b32_e32 v4, 16, v55
	v_mul_f16_sdwa v5, v7, v4 dst_sel:DWORD dst_unused:UNUSED_PAD src0_sel:WORD_1 src1_sel:DWORD
	v_fma_f16 v63, v7, v55, v5
	v_mul_f16_sdwa v5, v7, v55 dst_sel:DWORD dst_unused:UNUSED_PAD src0_sel:WORD_1 src1_sel:DWORD
	v_fma_f16 v55, v7, v4, -v5
	ds_read2st64_b32 v[4:5], v47 offset0:32 offset1:36
	v_lshrrev_b32_e32 v6, 16, v59
	v_mul_f16_sdwa v7, v9, v6 dst_sel:DWORD dst_unused:UNUSED_PAD src0_sel:WORD_1 src1_sel:DWORD
	v_fma_f16 v81, v9, v59, v7
	v_mul_f16_sdwa v7, v9, v59 dst_sel:DWORD dst_unused:UNUSED_PAD src0_sel:WORD_1 src1_sel:DWORD
	v_fma_f16 v9, v9, v6, -v7
	s_waitcnt lgkmcnt(0)
	v_lshrrev_b32_e32 v6, 16, v4
	v_mul_f16_sdwa v7, v8, v4 dst_sel:DWORD dst_unused:UNUSED_PAD src0_sel:WORD_1 src1_sel:DWORD
	v_fma_f16 v59, v8, v6, -v7
	v_mul_f16_sdwa v6, v8, v6 dst_sel:DWORD dst_unused:UNUSED_PAD src0_sel:WORD_1 src1_sel:DWORD
	v_fma_f16 v4, v8, v4, v6
	v_lshrrev_b32_e32 v6, 16, v56
	v_mul_f16_sdwa v7, v2, v6 dst_sel:DWORD dst_unused:UNUSED_PAD src0_sel:WORD_1 src1_sel:DWORD
	v_fma_f16 v8, v2, v56, v7
	v_mul_f16_sdwa v7, v2, v56 dst_sel:DWORD dst_unused:UNUSED_PAD src0_sel:WORD_1 src1_sel:DWORD
	v_fma_f16 v56, v2, v6, -v7
	v_lshrrev_b32_e32 v2, 16, v5
	ds_read2st64_b32 v[6:7], v47 offset0:8 offset1:12
	v_mul_f16_sdwa v82, v3, v2 dst_sel:DWORD dst_unused:UNUSED_PAD src0_sel:WORD_1 src1_sel:DWORD
	v_fma_f16 v82, v3, v5, v82
	v_mul_f16_sdwa v5, v3, v5 dst_sel:DWORD dst_unused:UNUSED_PAD src0_sel:WORD_1 src1_sel:DWORD
	v_fma_f16 v5, v3, v2, -v5
	ds_read2st64_b32 v[2:3], v47 offset1:4
	s_waitcnt lgkmcnt(1)
	v_lshrrev_b32_e32 v83, 16, v7
	v_mul_f16_sdwa v84, v1, v7 dst_sel:DWORD dst_unused:UNUSED_PAD src0_sel:WORD_1 src1_sel:DWORD
	v_fma_f16 v84, v1, v83, -v84
	v_mul_f16_sdwa v83, v1, v83 dst_sel:DWORD dst_unused:UNUSED_PAD src0_sel:WORD_1 src1_sel:DWORD
	v_fma_f16 v1, v1, v7, v83
	s_waitcnt lgkmcnt(0)
	v_sub_f16_e32 v7, v2, v8
	v_lshrrev_b32_e32 v8, 16, v2
	v_sub_f16_e32 v56, v8, v56
	v_sub_f16_e32 v82, v1, v82
	;; [unrolled: 1-line block ×3, first 2 shown]
	v_fma_f16 v8, v8, 2.0, -v56
	v_fma_f16 v1, v1, 2.0, -v82
	;; [unrolled: 1-line block ×4, first 2 shown]
	v_sub_f16_e32 v1, v2, v1
	v_sub_f16_e32 v83, v8, v83
	v_fma_f16 v2, v2, 2.0, -v1
	v_fma_f16 v8, v8, 2.0, -v83
	v_pack_b32_f16 v2, v2, v8
	v_add_f16_e32 v5, v7, v5
	v_sub_f16_e32 v8, v56, v82
	v_fma_f16 v7, v7, 2.0, -v5
	v_fma_f16 v56, v56, 2.0, -v8
	v_pack_b32_f16 v7, v7, v56
	s_barrier
	ds_write2_b32 v64, v2, v7 offset1:6
	v_pack_b32_f16 v1, v1, v83
	v_pack_b32_f16 v2, v5, v8
	ds_write2_b32 v64, v1, v2 offset0:12 offset1:18
	v_lshrrev_b32_e32 v2, 16, v3
	v_sub_f16_e32 v1, v3, v57
	v_sub_f16_e32 v5, v2, v61
	;; [unrolled: 1-line block ×4, first 2 shown]
	v_fma_f16 v3, v3, 2.0, -v1
	v_fma_f16 v2, v2, 2.0, -v5
	;; [unrolled: 1-line block ×4, first 2 shown]
	v_sub_f16_e32 v54, v3, v54
	v_sub_f16_e32 v56, v2, v56
	v_fma_f16 v3, v3, 2.0, -v54
	v_fma_f16 v2, v2, 2.0, -v56
	v_pack_b32_f16 v2, v3, v2
	v_add_f16_e32 v3, v1, v8
	v_sub_f16_e32 v7, v5, v7
	v_fma_f16 v1, v1, 2.0, -v3
	v_fma_f16 v5, v5, 2.0, -v7
	v_pack_b32_f16 v1, v1, v5
	ds_write2_b32 v65, v2, v1 offset1:6
	v_pack_b32_f16 v1, v54, v56
	v_pack_b32_f16 v2, v3, v7
	ds_write2_b32 v65, v1, v2 offset0:12 offset1:18
	v_sub_f16_e32 v1, v6, v4
	v_lshrrev_b32_e32 v2, 16, v6
	v_fma_f16 v3, v6, 2.0, -v1
	v_sub_f16_e32 v4, v2, v59
	v_sub_f16_e32 v5, v63, v81
	;; [unrolled: 1-line block ×3, first 2 shown]
	v_fma_f16 v2, v2, 2.0, -v4
	v_fma_f16 v7, v63, 2.0, -v5
	;; [unrolled: 1-line block ×3, first 2 shown]
	v_sub_f16_e32 v7, v3, v7
	v_sub_f16_e32 v8, v2, v8
	v_fma_f16 v3, v3, 2.0, -v7
	v_fma_f16 v2, v2, 2.0, -v8
	v_pack_b32_f16 v2, v3, v2
	v_add_f16_e32 v3, v1, v6
	v_sub_f16_e32 v5, v4, v5
	v_fma_f16 v1, v1, 2.0, -v3
	v_fma_f16 v4, v4, 2.0, -v5
	v_pack_b32_f16 v1, v1, v4
	ds_write2_b32 v66, v2, v1 offset1:6
	v_pack_b32_f16 v1, v7, v8
	v_pack_b32_f16 v2, v3, v5
	ds_write2_b32 v66, v1, v2 offset0:12 offset1:18
	s_waitcnt lgkmcnt(0)
	s_barrier
	ds_read2st64_b32 v[1:2], v47 offset0:16 offset1:20
	ds_read2st64_b32 v[3:4], v47 offset0:24 offset1:28
	s_waitcnt lgkmcnt(1)
	v_lshrrev_b32_e32 v5, 16, v1
	v_mul_f16_sdwa v6, v13, v1 dst_sel:DWORD dst_unused:UNUSED_PAD src0_sel:WORD_1 src1_sel:DWORD
	v_fma_f16 v7, v13, v5, -v6
	v_mul_f16_sdwa v5, v13, v5 dst_sel:DWORD dst_unused:UNUSED_PAD src0_sel:WORD_1 src1_sel:DWORD
	v_fma_f16 v8, v13, v1, v5
	ds_read2st64_b32 v[5:6], v47 offset0:40 offset1:44
	s_waitcnt lgkmcnt(1)
	v_lshrrev_b32_e32 v1, 16, v4
	v_mul_f16_sdwa v9, v14, v4 dst_sel:DWORD dst_unused:UNUSED_PAD src0_sel:WORD_1 src1_sel:DWORD
	v_fma_f16 v9, v14, v1, -v9
	v_mul_f16_sdwa v1, v14, v1 dst_sel:DWORD dst_unused:UNUSED_PAD src0_sel:WORD_1 src1_sel:DWORD
	v_fma_f16 v13, v14, v4, v1
	s_waitcnt lgkmcnt(0)
	v_lshrrev_b32_e32 v1, 16, v5
	v_mul_f16_sdwa v4, v15, v5 dst_sel:DWORD dst_unused:UNUSED_PAD src0_sel:WORD_1 src1_sel:DWORD
	v_fma_f16 v14, v15, v1, -v4
	v_mul_f16_sdwa v1, v15, v1 dst_sel:DWORD dst_unused:UNUSED_PAD src0_sel:WORD_1 src1_sel:DWORD
	v_fma_f16 v5, v15, v5, v1
	v_lshrrev_b32_e32 v1, 16, v2
	v_mul_f16_sdwa v4, v16, v1 dst_sel:DWORD dst_unused:UNUSED_PAD src0_sel:WORD_1 src1_sel:DWORD
	v_fma_f16 v15, v16, v2, v4
	v_mul_f16_sdwa v2, v16, v2 dst_sel:DWORD dst_unused:UNUSED_PAD src0_sel:WORD_1 src1_sel:DWORD
	v_fma_f16 v16, v16, v1, -v2
	ds_read2st64_b32 v[1:2], v47 offset0:32 offset1:36
	v_lshrrev_b32_e32 v4, 16, v6
	v_mul_f16_sdwa v54, v18, v4 dst_sel:DWORD dst_unused:UNUSED_PAD src0_sel:WORD_1 src1_sel:DWORD
	v_fma_f16 v54, v18, v6, v54
	v_mul_f16_sdwa v6, v18, v6 dst_sel:DWORD dst_unused:UNUSED_PAD src0_sel:WORD_1 src1_sel:DWORD
	v_fma_f16 v6, v18, v4, -v6
	s_waitcnt lgkmcnt(0)
	v_lshrrev_b32_e32 v4, 16, v1
	v_mul_f16_sdwa v18, v17, v1 dst_sel:DWORD dst_unused:UNUSED_PAD src0_sel:WORD_1 src1_sel:DWORD
	v_fma_f16 v18, v17, v4, -v18
	v_mul_f16_sdwa v4, v17, v4 dst_sel:DWORD dst_unused:UNUSED_PAD src0_sel:WORD_1 src1_sel:DWORD
	v_fma_f16 v17, v17, v1, v4
	v_lshrrev_b32_e32 v1, 16, v3
	v_mul_f16_sdwa v4, v11, v1 dst_sel:DWORD dst_unused:UNUSED_PAD src0_sel:WORD_1 src1_sel:DWORD
	v_fma_f16 v55, v11, v3, v4
	v_mul_f16_sdwa v3, v11, v3 dst_sel:DWORD dst_unused:UNUSED_PAD src0_sel:WORD_1 src1_sel:DWORD
	v_fma_f16 v11, v11, v1, -v3
	v_lshrrev_b32_e32 v1, 16, v2
	ds_read2st64_b32 v[3:4], v47 offset0:8 offset1:12
	v_mul_f16_sdwa v56, v12, v1 dst_sel:DWORD dst_unused:UNUSED_PAD src0_sel:WORD_1 src1_sel:DWORD
	v_fma_f16 v56, v12, v2, v56
	v_mul_f16_sdwa v2, v12, v2 dst_sel:DWORD dst_unused:UNUSED_PAD src0_sel:WORD_1 src1_sel:DWORD
	v_fma_f16 v12, v12, v1, -v2
	ds_read2st64_b32 v[1:2], v47 offset1:4
	s_waitcnt lgkmcnt(1)
	v_lshrrev_b32_e32 v57, 16, v4
	v_mul_f16_sdwa v58, v10, v4 dst_sel:DWORD dst_unused:UNUSED_PAD src0_sel:WORD_1 src1_sel:DWORD
	v_fma_f16 v58, v10, v57, -v58
	v_mul_f16_sdwa v57, v10, v57 dst_sel:DWORD dst_unused:UNUSED_PAD src0_sel:WORD_1 src1_sel:DWORD
	v_fma_f16 v4, v10, v4, v57
	s_waitcnt lgkmcnt(0)
	v_sub_f16_e32 v10, v1, v55
	v_lshrrev_b32_e32 v55, 16, v1
	v_sub_f16_e32 v11, v55, v11
	v_sub_f16_e32 v56, v4, v56
	;; [unrolled: 1-line block ×3, first 2 shown]
	v_fma_f16 v55, v55, 2.0, -v11
	v_fma_f16 v4, v4, 2.0, -v56
	;; [unrolled: 1-line block ×4, first 2 shown]
	v_sub_f16_e32 v4, v1, v4
	v_sub_f16_e32 v57, v55, v57
	v_fma_f16 v1, v1, 2.0, -v4
	v_fma_f16 v55, v55, 2.0, -v57
	v_pack_b32_f16 v1, v1, v55
	v_add_f16_e32 v12, v10, v12
	v_sub_f16_e32 v55, v11, v56
	v_fma_f16 v10, v10, 2.0, -v12
	v_fma_f16 v11, v11, 2.0, -v55
	v_pack_b32_f16 v10, v10, v11
	s_barrier
	ds_write2_b32 v67, v1, v10 offset1:24
	v_pack_b32_f16 v1, v4, v57
	v_pack_b32_f16 v4, v12, v55
	ds_write2_b32 v67, v1, v4 offset0:48 offset1:72
	v_lshrrev_b32_e32 v4, 16, v2
	v_sub_f16_e32 v1, v2, v13
	v_sub_f16_e32 v9, v4, v9
	v_sub_f16_e32 v5, v8, v5
	v_sub_f16_e32 v10, v7, v14
	v_fma_f16 v2, v2, 2.0, -v1
	v_fma_f16 v4, v4, 2.0, -v9
	;; [unrolled: 1-line block ×4, first 2 shown]
	v_sub_f16_e32 v8, v2, v8
	v_sub_f16_e32 v7, v4, v7
	v_fma_f16 v2, v2, 2.0, -v8
	v_fma_f16 v4, v4, 2.0, -v7
	v_pack_b32_f16 v2, v2, v4
	v_add_f16_e32 v4, v1, v10
	v_sub_f16_e32 v5, v9, v5
	v_fma_f16 v1, v1, 2.0, -v4
	v_fma_f16 v9, v9, 2.0, -v5
	v_pack_b32_f16 v1, v1, v9
	ds_write2_b32 v68, v2, v1 offset1:24
	v_pack_b32_f16 v1, v8, v7
	v_pack_b32_f16 v2, v4, v5
	ds_write2_b32 v68, v1, v2 offset0:48 offset1:72
	v_lshrrev_b32_e32 v2, 16, v3
	v_sub_f16_e32 v1, v3, v17
	v_sub_f16_e32 v4, v2, v18
	;; [unrolled: 1-line block ×4, first 2 shown]
	v_fma_f16 v3, v3, 2.0, -v1
	v_fma_f16 v2, v2, 2.0, -v4
	;; [unrolled: 1-line block ×4, first 2 shown]
	v_sub_f16_e32 v7, v3, v7
	v_sub_f16_e32 v8, v2, v8
	v_fma_f16 v3, v3, 2.0, -v7
	v_fma_f16 v2, v2, 2.0, -v8
	v_pack_b32_f16 v2, v3, v2
	v_add_f16_e32 v3, v1, v6
	v_sub_f16_e32 v5, v4, v5
	v_fma_f16 v1, v1, 2.0, -v3
	v_fma_f16 v4, v4, 2.0, -v5
	v_pack_b32_f16 v1, v1, v4
	ds_write2_b32 v69, v2, v1 offset1:24
	v_pack_b32_f16 v1, v7, v8
	v_pack_b32_f16 v2, v3, v5
	ds_write2_b32 v69, v1, v2 offset0:48 offset1:72
	s_waitcnt lgkmcnt(0)
	s_barrier
	ds_read2st64_b32 v[1:2], v47 offset0:16 offset1:20
	ds_read2st64_b32 v[3:4], v47 offset0:24 offset1:28
	s_waitcnt lgkmcnt(1)
	v_lshrrev_b32_e32 v5, 16, v1
	v_mul_f16_sdwa v6, v25, v1 dst_sel:DWORD dst_unused:UNUSED_PAD src0_sel:WORD_1 src1_sel:DWORD
	v_fma_f16 v7, v25, v5, -v6
	v_mul_f16_sdwa v5, v25, v5 dst_sel:DWORD dst_unused:UNUSED_PAD src0_sel:WORD_1 src1_sel:DWORD
	v_fma_f16 v8, v25, v1, v5
	ds_read2st64_b32 v[5:6], v47 offset0:40 offset1:44
	s_waitcnt lgkmcnt(1)
	v_lshrrev_b32_e32 v1, 16, v4
	v_mul_f16_sdwa v9, v26, v4 dst_sel:DWORD dst_unused:UNUSED_PAD src0_sel:WORD_1 src1_sel:DWORD
	v_fma_f16 v9, v26, v1, -v9
	v_mul_f16_sdwa v1, v26, v1 dst_sel:DWORD dst_unused:UNUSED_PAD src0_sel:WORD_1 src1_sel:DWORD
	v_fma_f16 v10, v26, v4, v1
	s_waitcnt lgkmcnt(0)
	v_lshrrev_b32_e32 v1, 16, v5
	v_mul_f16_sdwa v4, v27, v5 dst_sel:DWORD dst_unused:UNUSED_PAD src0_sel:WORD_1 src1_sel:DWORD
	v_fma_f16 v11, v27, v1, -v4
	v_mul_f16_sdwa v1, v27, v1 dst_sel:DWORD dst_unused:UNUSED_PAD src0_sel:WORD_1 src1_sel:DWORD
	v_fma_f16 v5, v27, v5, v1
	v_lshrrev_b32_e32 v1, 16, v2
	v_mul_f16_sdwa v4, v28, v1 dst_sel:DWORD dst_unused:UNUSED_PAD src0_sel:WORD_1 src1_sel:DWORD
	v_fma_f16 v12, v28, v2, v4
	v_mul_f16_sdwa v2, v28, v2 dst_sel:DWORD dst_unused:UNUSED_PAD src0_sel:WORD_1 src1_sel:DWORD
	v_fma_f16 v13, v28, v1, -v2
	ds_read2st64_b32 v[1:2], v47 offset0:32 offset1:36
	v_lshrrev_b32_e32 v4, 16, v6
	v_mul_f16_sdwa v14, v30, v4 dst_sel:DWORD dst_unused:UNUSED_PAD src0_sel:WORD_1 src1_sel:DWORD
	v_fma_f16 v14, v30, v6, v14
	v_mul_f16_sdwa v6, v30, v6 dst_sel:DWORD dst_unused:UNUSED_PAD src0_sel:WORD_1 src1_sel:DWORD
	v_fma_f16 v6, v30, v4, -v6
	s_waitcnt lgkmcnt(0)
	v_lshrrev_b32_e32 v4, 16, v1
	v_mul_f16_sdwa v15, v29, v1 dst_sel:DWORD dst_unused:UNUSED_PAD src0_sel:WORD_1 src1_sel:DWORD
	v_fma_f16 v15, v29, v4, -v15
	v_mul_f16_sdwa v4, v29, v4 dst_sel:DWORD dst_unused:UNUSED_PAD src0_sel:WORD_1 src1_sel:DWORD
	v_fma_f16 v16, v29, v1, v4
	v_lshrrev_b32_e32 v1, 16, v3
	v_mul_f16_sdwa v4, v20, v1 dst_sel:DWORD dst_unused:UNUSED_PAD src0_sel:WORD_1 src1_sel:DWORD
	v_fma_f16 v17, v20, v3, v4
	v_mul_f16_sdwa v3, v20, v3 dst_sel:DWORD dst_unused:UNUSED_PAD src0_sel:WORD_1 src1_sel:DWORD
	v_fma_f16 v18, v20, v1, -v3
	v_lshrrev_b32_e32 v1, 16, v2
	ds_read2st64_b32 v[3:4], v47 offset0:8 offset1:12
	v_mul_f16_sdwa v20, v21, v1 dst_sel:DWORD dst_unused:UNUSED_PAD src0_sel:WORD_1 src1_sel:DWORD
	v_fma_f16 v20, v21, v2, v20
	v_mul_f16_sdwa v2, v21, v2 dst_sel:DWORD dst_unused:UNUSED_PAD src0_sel:WORD_1 src1_sel:DWORD
	v_fma_f16 v21, v21, v1, -v2
	ds_read2st64_b32 v[1:2], v47 offset1:4
	s_waitcnt lgkmcnt(1)
	v_lshrrev_b32_e32 v25, 16, v4
	v_mul_f16_sdwa v26, v19, v4 dst_sel:DWORD dst_unused:UNUSED_PAD src0_sel:WORD_1 src1_sel:DWORD
	v_fma_f16 v26, v19, v25, -v26
	v_mul_f16_sdwa v25, v19, v25 dst_sel:DWORD dst_unused:UNUSED_PAD src0_sel:WORD_1 src1_sel:DWORD
	v_fma_f16 v4, v19, v4, v25
	s_waitcnt lgkmcnt(0)
	v_lshrrev_b32_e32 v19, 16, v1
	v_sub_f16_e32 v17, v1, v17
	v_sub_f16_e32 v18, v19, v18
	;; [unrolled: 1-line block ×4, first 2 shown]
	v_fma_f16 v19, v19, 2.0, -v18
	v_fma_f16 v4, v4, 2.0, -v20
	v_fma_f16 v25, v26, 2.0, -v21
	v_fma_f16 v1, v1, 2.0, -v17
	v_sub_f16_e32 v4, v1, v4
	v_sub_f16_e32 v25, v19, v25
	v_fma_f16 v1, v1, 2.0, -v4
	v_fma_f16 v19, v19, 2.0, -v25
	v_pack_b32_f16 v1, v1, v19
	v_add_f16_e32 v19, v17, v21
	v_sub_f16_e32 v20, v18, v20
	v_fma_f16 v17, v17, 2.0, -v19
	v_fma_f16 v18, v18, 2.0, -v20
	v_pack_b32_f16 v17, v17, v18
	s_barrier
	ds_write2_b32 v70, v1, v17 offset1:96
	v_pack_b32_f16 v1, v4, v25
	v_pack_b32_f16 v4, v19, v20
	ds_write2_b32 v71, v1, v4 offset0:64 offset1:160
	v_lshrrev_b32_e32 v4, 16, v2
	v_sub_f16_e32 v1, v2, v10
	v_sub_f16_e32 v9, v4, v9
	;; [unrolled: 1-line block ×4, first 2 shown]
	v_fma_f16 v2, v2, 2.0, -v1
	v_fma_f16 v4, v4, 2.0, -v9
	v_fma_f16 v8, v8, 2.0, -v5
	v_fma_f16 v7, v7, 2.0, -v10
	v_sub_f16_e32 v8, v2, v8
	v_sub_f16_e32 v7, v4, v7
	v_fma_f16 v2, v2, 2.0, -v8
	v_fma_f16 v4, v4, 2.0, -v7
	v_pack_b32_f16 v2, v2, v4
	v_add_f16_e32 v4, v1, v10
	v_sub_f16_e32 v5, v9, v5
	v_fma_f16 v1, v1, 2.0, -v4
	v_fma_f16 v9, v9, 2.0, -v5
	v_pack_b32_f16 v1, v1, v9
	ds_write2_b32 v72, v2, v1 offset1:96
	v_pack_b32_f16 v1, v8, v7
	v_pack_b32_f16 v2, v4, v5
	ds_write2_b32 v73, v1, v2 offset0:64 offset1:160
	v_lshrrev_b32_e32 v1, 16, v3
	v_sub_f16_e32 v2, v3, v16
	v_sub_f16_e32 v4, v1, v15
	;; [unrolled: 1-line block ×4, first 2 shown]
	v_fma_f16 v3, v3, 2.0, -v2
	v_fma_f16 v1, v1, 2.0, -v4
	;; [unrolled: 1-line block ×4, first 2 shown]
	v_sub_f16_e32 v7, v3, v7
	v_sub_f16_e32 v8, v1, v8
	v_add_f16_e32 v6, v2, v6
	v_sub_f16_e32 v5, v4, v5
	v_fma_f16 v3, v3, 2.0, -v7
	v_fma_f16 v1, v1, 2.0, -v8
	;; [unrolled: 1-line block ×4, first 2 shown]
	v_pack_b32_f16 v1, v3, v1
	v_pack_b32_f16 v2, v2, v4
	ds_write2_b32 v74, v1, v2 offset1:96
	v_pack_b32_f16 v1, v7, v8
	v_pack_b32_f16 v2, v6, v5
	ds_write2_b32 v75, v1, v2 offset0:64 offset1:160
	s_waitcnt lgkmcnt(0)
	s_barrier
	ds_read2st64_b32 v[1:2], v47 offset0:16 offset1:20
	ds_read2st64_b32 v[3:4], v47 offset0:24 offset1:28
	;; [unrolled: 1-line block ×3, first 2 shown]
	s_waitcnt lgkmcnt(2)
	v_lshrrev_b32_e32 v7, 16, v1
	v_mul_f16_sdwa v10, v34, v7 dst_sel:DWORD dst_unused:UNUSED_PAD src0_sel:WORD_1 src1_sel:DWORD
	v_fma_f16 v10, v34, v1, v10
	v_mul_f16_sdwa v1, v34, v1 dst_sel:DWORD dst_unused:UNUSED_PAD src0_sel:WORD_1 src1_sel:DWORD
	s_waitcnt lgkmcnt(1)
	v_lshrrev_b32_e32 v8, 16, v4
	v_fma_f16 v7, v34, v7, -v1
	v_mul_f16_sdwa v1, v35, v4 dst_sel:DWORD dst_unused:UNUSED_PAD src0_sel:WORD_1 src1_sel:DWORD
	v_fma_f16 v11, v35, v8, -v1
	v_mul_f16_sdwa v1, v35, v8 dst_sel:DWORD dst_unused:UNUSED_PAD src0_sel:WORD_1 src1_sel:DWORD
	s_waitcnt lgkmcnt(0)
	v_lshrrev_b32_e32 v9, 16, v5
	v_fma_f16 v8, v35, v4, v1
	v_mul_f16_sdwa v1, v36, v5 dst_sel:DWORD dst_unused:UNUSED_PAD src0_sel:WORD_1 src1_sel:DWORD
	v_fma_f16 v12, v36, v9, -v1
	v_mul_f16_sdwa v1, v36, v9 dst_sel:DWORD dst_unused:UNUSED_PAD src0_sel:WORD_1 src1_sel:DWORD
	v_fma_f16 v5, v36, v5, v1
	v_lshrrev_b32_e32 v1, 16, v2
	v_mul_f16_sdwa v4, v31, v1 dst_sel:DWORD dst_unused:UNUSED_PAD src0_sel:WORD_1 src1_sel:DWORD
	v_fma_f16 v9, v31, v2, v4
	v_mul_f16_sdwa v2, v31, v2 dst_sel:DWORD dst_unused:UNUSED_PAD src0_sel:WORD_1 src1_sel:DWORD
	v_fma_f16 v13, v31, v1, -v2
	ds_read2st64_b32 v[1:2], v47 offset0:32 offset1:36
	v_lshrrev_b32_e32 v4, 16, v6
	v_mul_f16_sdwa v14, v33, v4 dst_sel:DWORD dst_unused:UNUSED_PAD src0_sel:WORD_1 src1_sel:DWORD
	v_fma_f16 v14, v33, v6, v14
	v_mul_f16_sdwa v6, v33, v6 dst_sel:DWORD dst_unused:UNUSED_PAD src0_sel:WORD_1 src1_sel:DWORD
	v_fma_f16 v6, v33, v4, -v6
	s_waitcnt lgkmcnt(0)
	v_lshrrev_b32_e32 v4, 16, v1
	v_mul_f16_sdwa v15, v32, v1 dst_sel:DWORD dst_unused:UNUSED_PAD src0_sel:WORD_1 src1_sel:DWORD
	v_fma_f16 v15, v32, v4, -v15
	v_mul_f16_sdwa v4, v32, v4 dst_sel:DWORD dst_unused:UNUSED_PAD src0_sel:WORD_1 src1_sel:DWORD
	v_fma_f16 v16, v32, v1, v4
	v_lshrrev_b32_e32 v1, 16, v3
	v_mul_f16_sdwa v4, v23, v1 dst_sel:DWORD dst_unused:UNUSED_PAD src0_sel:WORD_1 src1_sel:DWORD
	v_fma_f16 v17, v23, v3, v4
	v_mul_f16_sdwa v3, v23, v3 dst_sel:DWORD dst_unused:UNUSED_PAD src0_sel:WORD_1 src1_sel:DWORD
	v_fma_f16 v18, v23, v1, -v3
	v_lshrrev_b32_e32 v1, 16, v2
	ds_read2st64_b32 v[3:4], v47 offset0:8 offset1:12
	v_mul_f16_sdwa v19, v24, v1 dst_sel:DWORD dst_unused:UNUSED_PAD src0_sel:WORD_1 src1_sel:DWORD
	v_fma_f16 v19, v24, v2, v19
	v_mul_f16_sdwa v2, v24, v2 dst_sel:DWORD dst_unused:UNUSED_PAD src0_sel:WORD_1 src1_sel:DWORD
	v_fma_f16 v20, v24, v1, -v2
	ds_read2st64_b32 v[1:2], v47 offset1:4
	s_waitcnt lgkmcnt(1)
	v_lshrrev_b32_e32 v21, 16, v4
	v_mul_f16_sdwa v23, v22, v4 dst_sel:DWORD dst_unused:UNUSED_PAD src0_sel:WORD_1 src1_sel:DWORD
	v_fma_f16 v23, v22, v21, -v23
	v_mul_f16_sdwa v21, v22, v21 dst_sel:DWORD dst_unused:UNUSED_PAD src0_sel:WORD_1 src1_sel:DWORD
	v_fma_f16 v4, v22, v4, v21
	s_waitcnt lgkmcnt(0)
	v_lshrrev_b32_e32 v21, 16, v1
	v_sub_f16_e32 v17, v1, v17
	v_sub_f16_e32 v18, v21, v18
	;; [unrolled: 1-line block ×4, first 2 shown]
	v_fma_f16 v21, v21, 2.0, -v18
	v_fma_f16 v4, v4, 2.0, -v19
	;; [unrolled: 1-line block ×4, first 2 shown]
	v_sub_f16_e32 v4, v1, v4
	v_sub_f16_e32 v22, v21, v22
	v_add_f16_e32 v20, v17, v20
	v_sub_f16_e32 v19, v18, v19
	v_fma_f16 v1, v1, 2.0, -v4
	v_fma_f16 v21, v21, 2.0, -v22
	;; [unrolled: 1-line block ×4, first 2 shown]
	v_pack_b32_f16 v1, v1, v21
	v_pack_b32_f16 v17, v17, v18
	s_barrier
	ds_write2st64_b32 v47, v1, v17 offset1:6
	v_sub_f16_e32 v1, v2, v8
	v_lshrrev_b32_e32 v8, 16, v2
	v_sub_f16_e32 v11, v8, v11
	v_sub_f16_e32 v5, v10, v5
	;; [unrolled: 1-line block ×3, first 2 shown]
	v_fma_f16 v2, v2, 2.0, -v1
	v_lshrrev_b32_e32 v17, 16, v3
	v_fma_f16 v8, v8, 2.0, -v11
	v_fma_f16 v10, v10, 2.0, -v5
	;; [unrolled: 1-line block ×3, first 2 shown]
	v_sub_f16_e32 v16, v3, v16
	v_sub_f16_e32 v10, v2, v10
	;; [unrolled: 1-line block ×3, first 2 shown]
	v_add_f16_e32 v12, v1, v12
	v_sub_f16_e32 v5, v11, v5
	v_sub_f16_e32 v15, v17, v15
	;; [unrolled: 1-line block ×4, first 2 shown]
	v_fma_f16 v3, v3, 2.0, -v16
	v_fma_f16 v2, v2, 2.0, -v10
	;; [unrolled: 1-line block ×8, first 2 shown]
	v_sub_f16_e32 v9, v3, v9
	v_sub_f16_e32 v13, v17, v13
	v_add_f16_e32 v6, v16, v6
	v_sub_f16_e32 v14, v15, v14
	v_pack_b32_f16 v4, v4, v22
	v_pack_b32_f16 v18, v20, v19
	;; [unrolled: 1-line block ×4, first 2 shown]
	v_fma_f16 v3, v3, 2.0, -v9
	v_fma_f16 v17, v17, 2.0, -v13
	;; [unrolled: 1-line block ×4, first 2 shown]
	ds_write2st64_b32 v47, v4, v18 offset0:12 offset1:18
	ds_write2st64_b32 v38, v2, v1 offset1:6
	v_pack_b32_f16 v1, v10, v7
	v_pack_b32_f16 v2, v12, v5
	ds_write2st64_b32 v38, v1, v2 offset0:12 offset1:18
	v_pack_b32_f16 v1, v3, v17
	v_pack_b32_f16 v2, v16, v15
	ds_write2st64_b32 v47, v1, v2 offset0:26 offset1:32
	;; [unrolled: 3-line block ×3, first 2 shown]
	s_waitcnt lgkmcnt(0)
	s_barrier
	ds_read2st64_b32 v[1:2], v47 offset1:4
	ds_read2st64_b32 v[3:4], v47 offset0:24 offset1:28
	ds_read2st64_b32 v[5:6], v47 offset0:8 offset1:12
	;; [unrolled: 1-line block ×5, first 2 shown]
	s_waitcnt lgkmcnt(5)
	v_lshrrev_b32_e32 v13, 16, v1
	s_waitcnt lgkmcnt(4)
	v_lshrrev_b32_e32 v14, 16, v3
	v_mul_f16_sdwa v21, v80, v3 dst_sel:DWORD dst_unused:UNUSED_PAD src0_sel:WORD_1 src1_sel:DWORD
	v_lshrrev_b32_e32 v16, 16, v4
	s_waitcnt lgkmcnt(2)
	v_lshrrev_b32_e32 v18, 16, v7
	v_fma_f16 v21, v80, v14, -v21
	v_mul_f16_sdwa v14, v80, v14 dst_sel:DWORD dst_unused:UNUSED_PAD src0_sel:WORD_1 src1_sel:DWORD
	v_mul_f16_sdwa v23, v77, v7 dst_sel:DWORD dst_unused:UNUSED_PAD src0_sel:WORD_1 src1_sel:DWORD
	v_lshrrev_b32_e32 v20, 16, v8
	v_fma_f16 v3, v80, v3, v14
	v_mul_f16_sdwa v14, v79, v16 dst_sel:DWORD dst_unused:UNUSED_PAD src0_sel:WORD_1 src1_sel:DWORD
	v_fma_f16 v23, v77, v18, -v23
	v_mul_f16_sdwa v18, v77, v18 dst_sel:DWORD dst_unused:UNUSED_PAD src0_sel:WORD_1 src1_sel:DWORD
	v_fma_f16 v14, v79, v4, v14
	v_mul_f16_sdwa v4, v79, v4 dst_sel:DWORD dst_unused:UNUSED_PAD src0_sel:WORD_1 src1_sel:DWORD
	v_fma_f16 v7, v77, v7, v18
	v_mul_f16_sdwa v18, v78, v20 dst_sel:DWORD dst_unused:UNUSED_PAD src0_sel:WORD_1 src1_sel:DWORD
	v_fma_f16 v4, v79, v16, -v4
	s_waitcnt lgkmcnt(0)
	v_lshrrev_b32_e32 v16, 16, v11
	v_fma_f16 v18, v78, v8, v18
	v_mul_f16_sdwa v8, v78, v8 dst_sel:DWORD dst_unused:UNUSED_PAD src0_sel:WORD_1 src1_sel:DWORD
	v_mul_f16_sdwa v25, v76, v11 dst_sel:DWORD dst_unused:UNUSED_PAD src0_sel:WORD_1 src1_sel:DWORD
	v_fma_f16 v8, v78, v20, -v8
	v_lshrrev_b32_e32 v20, 16, v12
	v_fma_f16 v25, v76, v16, -v25
	v_mul_f16_sdwa v16, v76, v16 dst_sel:DWORD dst_unused:UNUSED_PAD src0_sel:WORD_1 src1_sel:DWORD
	v_fma_f16 v11, v76, v11, v16
	v_mul_f16_sdwa v16, v39, v20 dst_sel:DWORD dst_unused:UNUSED_PAD src0_sel:WORD_1 src1_sel:DWORD
	v_lshrrev_b32_e32 v15, 16, v2
	v_fma_f16 v16, v39, v12, v16
	v_mul_f16_sdwa v12, v39, v12 dst_sel:DWORD dst_unused:UNUSED_PAD src0_sel:WORD_1 src1_sel:DWORD
	v_fma_f16 v12, v39, v20, -v12
	v_sub_f16_e32 v3, v1, v3
	v_sub_f16_e32 v20, v13, v21
	;; [unrolled: 1-line block ×4, first 2 shown]
	v_lshrrev_b32_e32 v17, 16, v5
	v_lshrrev_b32_e32 v19, 16, v6
	v_fma_f16 v1, v1, 2.0, -v3
	v_fma_f16 v13, v13, 2.0, -v20
	;; [unrolled: 1-line block ×4, first 2 shown]
	v_sub_f16_e32 v7, v5, v7
	v_sub_f16_e32 v21, v17, v23
	;; [unrolled: 1-line block ×4, first 2 shown]
	v_pack_b32_f16 v1, v1, v13
	v_pack_b32_f16 v2, v2, v15
	v_lshrrev_b32_e32 v22, 16, v9
	v_lshrrev_b32_e32 v24, 16, v10
	v_fma_f16 v5, v5, 2.0, -v7
	v_fma_f16 v17, v17, 2.0, -v21
	;; [unrolled: 1-line block ×4, first 2 shown]
	v_pack_b32_f16 v3, v3, v20
	ds_write2st64_b32 v47, v1, v2 offset1:4
	v_pack_b32_f16 v1, v14, v4
	v_sub_f16_e32 v11, v9, v11
	v_sub_f16_e32 v23, v22, v25
	;; [unrolled: 1-line block ×4, first 2 shown]
	ds_write2st64_b32 v47, v3, v1 offset0:24 offset1:28
	v_pack_b32_f16 v1, v5, v17
	v_pack_b32_f16 v3, v6, v19
	v_fma_f16 v9, v9, 2.0, -v11
	v_fma_f16 v22, v22, 2.0, -v23
	;; [unrolled: 1-line block ×4, first 2 shown]
	v_pack_b32_f16 v2, v7, v21
	ds_write2st64_b32 v47, v1, v3 offset0:8 offset1:12
	v_pack_b32_f16 v1, v18, v8
	ds_write2st64_b32 v47, v2, v1 offset0:32 offset1:36
	v_pack_b32_f16 v1, v9, v22
	v_pack_b32_f16 v3, v10, v24
	;; [unrolled: 1-line block ×3, first 2 shown]
	ds_write2st64_b32 v47, v1, v3 offset0:16 offset1:20
	v_pack_b32_f16 v1, v16, v12
	ds_write2st64_b32 v47, v2, v1 offset0:40 offset1:44
	s_waitcnt lgkmcnt(0)
	s_barrier
	ds_read2st64_b32 v[1:2], v47 offset1:4
	v_mad_u64_u32 v[5:6], s[0:1], s10, v37, 0
	s_movk_i32 s10, 0x40f
	s_waitcnt lgkmcnt(0)
	v_lshrrev_b32_e32 v8, 16, v1
	v_mul_f16_sdwa v3, v53, v8 dst_sel:DWORD dst_unused:UNUSED_PAD src0_sel:WORD_1 src1_sel:DWORD
	v_fma_f16 v3, v53, v1, v3
	v_cvt_f32_f16_e32 v3, v3
	v_mad_u64_u32 v[6:7], s[0:1], s11, v37, v[6:7]
	v_mul_f16_sdwa v1, v53, v1 dst_sel:DWORD dst_unused:UNUSED_PAD src0_sel:WORD_1 src1_sel:DWORD
	v_cvt_f64_f32_e32 v[3:4], v3
	v_fma_f16 v1, v53, v8, -v1
	v_cvt_f32_f16_e32 v1, v1
	s_mov_b32 s11, 0x8000
	v_mul_f64 v[3:4], v[3:4], s[2:3]
	v_lshlrev_b64 v[5:6], 2, v[5:6]
	v_and_or_b32 v3, v4, s6, v3
	v_cmp_ne_u32_e32 vcc, 0, v3
	v_cndmask_b32_e64 v3, 0, 1, vcc
	v_lshrrev_b32_e32 v7, 8, v4
	v_bfe_u32 v9, v4, 20, 11
	v_and_or_b32 v3, v7, s7, v3
	v_sub_u32_e32 v10, 0x3f1, v9
	v_or_b32_e32 v7, 0x1000, v3
	v_med3_i32 v10, v10, 0, 13
	v_lshrrev_b32_e32 v11, v10, v7
	v_lshlrev_b32_e32 v10, v10, v11
	v_cmp_ne_u32_e32 vcc, v10, v7
	v_cndmask_b32_e64 v7, 0, 1, vcc
	v_add_u32_e32 v9, 0xfffffc10, v9
	v_or_b32_e32 v7, v11, v7
	v_lshl_or_b32 v10, v9, 12, v3
	v_cmp_gt_i32_e32 vcc, 1, v9
	v_cndmask_b32_e32 v7, v10, v7, vcc
	v_and_b32_e32 v10, 7, v7
	v_cmp_lt_i32_e32 vcc, 5, v10
	v_cmp_eq_u32_e64 s[0:1], 3, v10
	v_lshrrev_b32_e32 v7, 2, v7
	s_or_b64 vcc, s[0:1], vcc
	v_addc_co_u32_e32 v10, vcc, 0, v7, vcc
	v_cvt_f64_f32_e32 v[7:8], v1
	v_mov_b32_e32 v11, 0x7c00
	v_cmp_gt_i32_e32 vcc, 31, v9
	v_cndmask_b32_e32 v1, v11, v10, vcc
	v_mul_f64 v[7:8], v[7:8], s[2:3]
	v_cmp_ne_u32_e32 vcc, 0, v3
	v_cndmask_b32_e64 v3, 0, 1, vcc
	v_lshl_or_b32 v3, v3, 9, v11
	v_cmp_eq_u32_e32 vcc, s10, v9
	v_cndmask_b32_e32 v1, v1, v3, vcc
	v_lshrrev_b32_e32 v3, 16, v4
	v_and_or_b32 v12, v3, s11, v1
	v_and_or_b32 v1, v8, s6, v7
	v_cmp_ne_u32_e32 vcc, 0, v1
	v_cndmask_b32_e64 v1, 0, 1, vcc
	v_lshrrev_b32_e32 v3, 8, v8
	v_bfe_u32 v4, v8, 20, 11
	v_and_or_b32 v1, v3, s7, v1
	v_sub_u32_e32 v7, 0x3f1, v4
	v_or_b32_e32 v3, 0x1000, v1
	v_med3_i32 v7, v7, 0, 13
	v_lshrrev_b32_e32 v9, v7, v3
	v_lshlrev_b32_e32 v7, v7, v9
	v_cmp_ne_u32_e32 vcc, v7, v3
	v_cndmask_b32_e64 v3, 0, 1, vcc
	v_add_u32_e32 v4, 0xfffffc10, v4
	v_or_b32_e32 v3, v9, v3
	v_lshl_or_b32 v7, v4, 12, v1
	v_cmp_gt_i32_e32 vcc, 1, v4
	v_cndmask_b32_e32 v3, v7, v3, vcc
	v_and_b32_e32 v7, 7, v3
	v_cmp_lt_i32_e32 vcc, 5, v7
	v_cmp_eq_u32_e64 s[0:1], 3, v7
	v_lshrrev_b32_e32 v3, 2, v3
	s_or_b64 vcc, s[0:1], vcc
	v_addc_co_u32_e32 v3, vcc, 0, v3, vcc
	v_cmp_gt_i32_e32 vcc, 31, v4
	v_cndmask_b32_e32 v3, v11, v3, vcc
	v_cmp_ne_u32_e32 vcc, 0, v1
	v_cndmask_b32_e64 v1, 0, 1, vcc
	v_lshl_or_b32 v1, v1, 9, v11
	v_cmp_eq_u32_e32 vcc, s10, v4
	v_mad_u64_u32 v[9:10], s[0:1], s8, v0, 0
	v_cndmask_b32_e32 v7, v3, v1, vcc
	ds_read2st64_b32 v[3:4], v47 offset0:8 offset1:12
	v_mov_b32_e32 v1, v10
	v_mad_u64_u32 v[0:1], s[0:1], s9, v0, v[1:2]
	v_lshrrev_b32_e32 v8, 16, v8
	s_waitcnt lgkmcnt(0)
	v_lshrrev_b32_e32 v13, 16, v3
	v_mul_f16_sdwa v1, v52, v13 dst_sel:DWORD dst_unused:UNUSED_PAD src0_sel:WORD_1 src1_sel:DWORD
	v_fma_f16 v1, v52, v3, v1
	v_cvt_f32_f16_e32 v1, v1
	v_mov_b32_e32 v10, v0
	v_and_or_b32 v7, v8, s11, v7
	v_and_b32_e32 v8, 0xffff, v12
	v_cvt_f64_f32_e32 v[0:1], v1
	v_lshl_or_b32 v7, v7, 16, v8
	v_mov_b32_e32 v8, s5
	v_add_co_u32_e32 v12, vcc, s4, v5
	v_mul_f64 v[0:1], v[0:1], s[2:3]
	v_addc_co_u32_e32 v8, vcc, v8, v6, vcc
	v_lshlrev_b64 v[5:6], 2, v[9:10]
	v_mul_f16_sdwa v3, v52, v3 dst_sel:DWORD dst_unused:UNUSED_PAD src0_sel:WORD_1 src1_sel:DWORD
	v_add_co_u32_e32 v5, vcc, v12, v5
	v_addc_co_u32_e32 v6, vcc, v8, v6, vcc
	v_and_or_b32 v0, v1, s6, v0
	v_cmp_ne_u32_e32 vcc, 0, v0
	global_store_dword v[5:6], v7, off
	v_cndmask_b32_e64 v0, 0, 1, vcc
	v_lshrrev_b32_e32 v7, 8, v1
	v_bfe_u32 v8, v1, 20, 11
	v_and_or_b32 v0, v7, s7, v0
	v_sub_u32_e32 v9, 0x3f1, v8
	v_or_b32_e32 v7, 0x1000, v0
	v_med3_i32 v9, v9, 0, 13
	v_lshrrev_b32_e32 v10, v9, v7
	v_lshlrev_b32_e32 v9, v9, v10
	v_cmp_ne_u32_e32 vcc, v9, v7
	v_fma_f16 v3, v52, v13, -v3
	v_cndmask_b32_e64 v7, 0, 1, vcc
	v_add_u32_e32 v9, 0xfffffc10, v8
	v_cvt_f32_f16_e32 v3, v3
	v_or_b32_e32 v7, v10, v7
	v_lshl_or_b32 v8, v9, 12, v0
	v_cmp_gt_i32_e32 vcc, 1, v9
	v_cndmask_b32_e32 v7, v8, v7, vcc
	v_and_b32_e32 v8, 7, v7
	v_cmp_lt_i32_e32 vcc, 5, v8
	v_cmp_eq_u32_e64 s[0:1], 3, v8
	v_lshrrev_b32_e32 v10, 2, v7
	v_cvt_f64_f32_e32 v[7:8], v3
	s_or_b64 vcc, s[0:1], vcc
	v_addc_co_u32_e32 v3, vcc, 0, v10, vcc
	v_mul_f64 v[7:8], v[7:8], s[2:3]
	v_cmp_gt_i32_e32 vcc, 31, v9
	v_cndmask_b32_e32 v3, v11, v3, vcc
	v_cmp_ne_u32_e32 vcc, 0, v0
	v_cndmask_b32_e64 v0, 0, 1, vcc
	v_lshl_or_b32 v0, v0, 9, v11
	v_cmp_eq_u32_e32 vcc, s10, v9
	v_cndmask_b32_e32 v0, v3, v0, vcc
	v_lshrrev_b32_e32 v1, 16, v1
	v_and_or_b32 v3, v1, s11, v0
	v_and_or_b32 v0, v8, s6, v7
	v_cmp_ne_u32_e32 vcc, 0, v0
	v_cndmask_b32_e64 v0, 0, 1, vcc
	v_lshrrev_b32_e32 v1, 8, v8
	v_and_or_b32 v7, v1, s7, v0
	v_bfe_u32 v1, v8, 20, 11
	v_sub_u32_e32 v9, 0x3f1, v1
	v_or_b32_e32 v0, 0x1000, v7
	v_med3_i32 v9, v9, 0, 13
	v_lshrrev_b32_e32 v10, v9, v0
	v_lshlrev_b32_e32 v9, v9, v10
	v_cmp_ne_u32_e32 vcc, v9, v0
	v_cndmask_b32_e64 v0, 0, 1, vcc
	v_add_u32_e32 v9, 0xfffffc10, v1
	v_or_b32_e32 v0, v10, v0
	v_lshl_or_b32 v1, v9, 12, v7
	v_cmp_gt_i32_e32 vcc, 1, v9
	v_cndmask_b32_e32 v0, v1, v0, vcc
	v_and_b32_e32 v1, 7, v0
	v_cmp_lt_i32_e32 vcc, 5, v1
	v_cmp_eq_u32_e64 s[0:1], 3, v1
	v_lshrrev_b32_e32 v0, 2, v0
	s_or_b64 vcc, s[0:1], vcc
	v_addc_co_u32_e32 v10, vcc, 0, v0, vcc
	ds_read2st64_b32 v[0:1], v47 offset0:16 offset1:20
	v_cmp_gt_i32_e32 vcc, 31, v9
	v_cndmask_b32_e32 v10, v11, v10, vcc
	v_cmp_ne_u32_e32 vcc, 0, v7
	v_cndmask_b32_e64 v7, 0, 1, vcc
	s_waitcnt lgkmcnt(0)
	v_lshrrev_b32_e32 v12, 16, v0
	v_mul_f16_sdwa v13, v51, v12 dst_sel:DWORD dst_unused:UNUSED_PAD src0_sel:WORD_1 src1_sel:DWORD
	v_fma_f16 v13, v51, v0, v13
	v_cvt_f32_f16_e32 v13, v13
	v_lshl_or_b32 v7, v7, 9, v11
	v_cmp_eq_u32_e32 vcc, s10, v9
	v_cndmask_b32_e32 v9, v10, v7, vcc
	v_lshrrev_b32_e32 v10, 16, v8
	v_cvt_f64_f32_e32 v[7:8], v13
	v_and_or_b32 v9, v10, s11, v9
	v_and_b32_e32 v3, 0xffff, v3
	s_lshl_b64 s[4:5], s[8:9], 11
	v_mul_f64 v[7:8], v[7:8], s[2:3]
	v_lshl_or_b32 v13, v9, 16, v3
	v_mov_b32_e32 v3, s5
	v_add_co_u32_e32 v9, vcc, s4, v5
	v_addc_co_u32_e32 v10, vcc, v6, v3, vcc
	global_store_dword v[9:10], v13, off
	v_and_or_b32 v5, v8, s6, v7
	v_cmp_ne_u32_e32 vcc, 0, v5
	v_cndmask_b32_e64 v5, 0, 1, vcc
	v_lshrrev_b32_e32 v6, 8, v8
	v_and_or_b32 v13, v6, s7, v5
	v_bfe_u32 v6, v8, 20, 11
	v_sub_u32_e32 v7, 0x3f1, v6
	v_or_b32_e32 v5, 0x1000, v13
	v_med3_i32 v7, v7, 0, 13
	v_lshrrev_b32_e32 v14, v7, v5
	v_lshlrev_b32_e32 v7, v7, v14
	v_cmp_ne_u32_e32 vcc, v7, v5
	v_mul_f16_sdwa v0, v51, v0 dst_sel:DWORD dst_unused:UNUSED_PAD src0_sel:WORD_1 src1_sel:DWORD
	v_cndmask_b32_e64 v5, 0, 1, vcc
	v_fma_f16 v0, v51, v12, -v0
	v_or_b32_e32 v5, v14, v5
	v_add_u32_e32 v14, 0xfffffc10, v6
	v_cvt_f32_f16_e32 v0, v0
	v_lshl_or_b32 v6, v14, 12, v13
	v_cmp_gt_i32_e32 vcc, 1, v14
	v_cndmask_b32_e32 v5, v6, v5, vcc
	v_and_b32_e32 v6, 7, v5
	v_cmp_lt_i32_e32 vcc, 5, v6
	v_cmp_eq_u32_e64 s[0:1], 3, v6
	v_lshrrev_b32_e32 v7, 2, v5
	v_cvt_f64_f32_e32 v[5:6], v0
	s_or_b64 vcc, s[0:1], vcc
	v_addc_co_u32_e32 v0, vcc, 0, v7, vcc
	v_mul_f64 v[6:7], v[5:6], s[2:3]
	v_cmp_gt_i32_e32 vcc, 31, v14
	v_cndmask_b32_e32 v0, v11, v0, vcc
	v_cmp_ne_u32_e32 vcc, 0, v13
	v_cndmask_b32_e64 v5, 0, 1, vcc
	v_lshl_or_b32 v5, v5, 9, v11
	v_cmp_eq_u32_e32 vcc, s10, v14
	v_cndmask_b32_e32 v0, v0, v5, vcc
	v_lshrrev_b32_e32 v5, 16, v8
	v_and_or_b32 v0, v5, s11, v0
	v_and_or_b32 v5, v7, s6, v6
	v_cmp_ne_u32_e32 vcc, 0, v5
	v_cndmask_b32_e64 v5, 0, 1, vcc
	v_lshrrev_b32_e32 v6, 8, v7
	v_and_or_b32 v8, v6, s7, v5
	v_bfe_u32 v6, v7, 20, 11
	v_sub_u32_e32 v12, 0x3f1, v6
	v_or_b32_e32 v5, 0x1000, v8
	v_med3_i32 v12, v12, 0, 13
	v_lshrrev_b32_e32 v13, v12, v5
	v_lshlrev_b32_e32 v12, v12, v13
	v_cmp_ne_u32_e32 vcc, v12, v5
	v_cndmask_b32_e64 v5, 0, 1, vcc
	v_add_u32_e32 v14, 0xfffffc10, v6
	v_or_b32_e32 v5, v13, v5
	v_lshl_or_b32 v6, v14, 12, v8
	v_cmp_gt_i32_e32 vcc, 1, v14
	v_cndmask_b32_e32 v5, v6, v5, vcc
	v_and_b32_e32 v6, 7, v5
	v_cmp_lt_i32_e32 vcc, 5, v6
	v_cmp_eq_u32_e64 s[0:1], 3, v6
	v_lshrrev_b32_e32 v12, 2, v5
	ds_read2st64_b32 v[5:6], v47 offset0:24 offset1:28
	s_or_b64 vcc, s[0:1], vcc
	v_addc_co_u32_e32 v12, vcc, 0, v12, vcc
	v_cmp_gt_i32_e32 vcc, 31, v14
	s_waitcnt lgkmcnt(0)
	v_lshrrev_b32_e32 v16, 16, v5
	v_cndmask_b32_e32 v15, v11, v12, vcc
	v_mul_f16_sdwa v12, v50, v16 dst_sel:DWORD dst_unused:UNUSED_PAD src0_sel:WORD_1 src1_sel:DWORD
	v_fma_f16 v12, v50, v5, v12
	v_cvt_f32_f16_e32 v12, v12
	v_cmp_ne_u32_e32 vcc, 0, v8
	v_cndmask_b32_e64 v8, 0, 1, vcc
	v_lshl_or_b32 v8, v8, 9, v11
	v_cvt_f64_f32_e32 v[12:13], v12
	v_cmp_eq_u32_e32 vcc, s10, v14
	v_cndmask_b32_e32 v8, v15, v8, vcc
	v_lshrrev_b32_e32 v7, 16, v7
	v_and_or_b32 v14, v7, s11, v8
	v_mul_f64 v[7:8], v[12:13], s[2:3]
	v_and_b32_e32 v0, 0xffff, v0
	v_add_co_u32_e32 v9, vcc, s4, v9
	v_lshl_or_b32 v0, v14, 16, v0
	v_addc_co_u32_e32 v10, vcc, v10, v3, vcc
	global_store_dword v[9:10], v0, off
	v_and_or_b32 v0, v8, s6, v7
	v_cmp_ne_u32_e32 vcc, 0, v0
	v_cndmask_b32_e64 v0, 0, 1, vcc
	v_lshrrev_b32_e32 v7, 8, v8
	v_bfe_u32 v12, v8, 20, 11
	v_and_or_b32 v0, v7, s7, v0
	v_sub_u32_e32 v13, 0x3f1, v12
	v_or_b32_e32 v7, 0x1000, v0
	v_med3_i32 v13, v13, 0, 13
	v_lshrrev_b32_e32 v14, v13, v7
	v_lshlrev_b32_e32 v13, v13, v14
	v_cmp_ne_u32_e32 vcc, v13, v7
	v_mul_f16_sdwa v5, v50, v5 dst_sel:DWORD dst_unused:UNUSED_PAD src0_sel:WORD_1 src1_sel:DWORD
	v_cndmask_b32_e64 v7, 0, 1, vcc
	v_fma_f16 v5, v50, v16, -v5
	v_or_b32_e32 v7, v14, v7
	v_add_u32_e32 v14, 0xfffffc10, v12
	v_cvt_f32_f16_e32 v5, v5
	v_lshl_or_b32 v12, v14, 12, v0
	v_cmp_gt_i32_e32 vcc, 1, v14
	v_cndmask_b32_e32 v7, v12, v7, vcc
	v_and_b32_e32 v12, 7, v7
	v_cmp_lt_i32_e32 vcc, 5, v12
	v_cmp_eq_u32_e64 s[0:1], 3, v12
	v_cvt_f64_f32_e32 v[12:13], v5
	v_lshrrev_b32_e32 v7, 2, v7
	s_or_b64 vcc, s[0:1], vcc
	v_addc_co_u32_e32 v5, vcc, 0, v7, vcc
	v_mul_f64 v[12:13], v[12:13], s[2:3]
	v_cmp_gt_i32_e32 vcc, 31, v14
	v_cndmask_b32_e32 v5, v11, v5, vcc
	v_cmp_ne_u32_e32 vcc, 0, v0
	v_cndmask_b32_e64 v0, 0, 1, vcc
	v_lshl_or_b32 v0, v0, 9, v11
	v_cmp_eq_u32_e32 vcc, s10, v14
	v_cndmask_b32_e32 v0, v5, v0, vcc
	v_lshrrev_b32_e32 v5, 16, v8
	v_and_or_b32 v0, v5, s11, v0
	v_and_or_b32 v5, v13, s6, v12
	v_cmp_ne_u32_e32 vcc, 0, v5
	v_cndmask_b32_e64 v5, 0, 1, vcc
	v_lshrrev_b32_e32 v7, 8, v13
	v_bfe_u32 v8, v13, 20, 11
	v_and_or_b32 v5, v7, s7, v5
	v_sub_u32_e32 v12, 0x3f1, v8
	v_or_b32_e32 v7, 0x1000, v5
	v_med3_i32 v12, v12, 0, 13
	v_lshrrev_b32_e32 v14, v12, v7
	v_lshlrev_b32_e32 v12, v12, v14
	v_cmp_ne_u32_e32 vcc, v12, v7
	v_cndmask_b32_e64 v7, 0, 1, vcc
	v_add_u32_e32 v12, 0xfffffc10, v8
	v_or_b32_e32 v7, v14, v7
	v_lshl_or_b32 v8, v12, 12, v5
	v_cmp_gt_i32_e32 vcc, 1, v12
	v_cndmask_b32_e32 v7, v8, v7, vcc
	v_and_b32_e32 v8, 7, v7
	v_cmp_lt_i32_e32 vcc, 5, v8
	v_cmp_eq_u32_e64 s[0:1], 3, v8
	v_lshrrev_b32_e32 v14, 2, v7
	ds_read2st64_b32 v[7:8], v47 offset0:32 offset1:36
	s_or_b64 vcc, s[0:1], vcc
	v_addc_co_u32_e32 v14, vcc, 0, v14, vcc
	v_cmp_gt_i32_e32 vcc, 31, v12
	s_waitcnt lgkmcnt(0)
	v_lshrrev_b32_e32 v17, 16, v7
	v_cndmask_b32_e32 v16, v11, v14, vcc
	v_mul_f16_sdwa v14, v49, v17 dst_sel:DWORD dst_unused:UNUSED_PAD src0_sel:WORD_1 src1_sel:DWORD
	v_fma_f16 v14, v49, v7, v14
	v_cvt_f32_f16_e32 v14, v14
	v_cmp_ne_u32_e32 vcc, 0, v5
	v_cndmask_b32_e64 v5, 0, 1, vcc
	v_lshl_or_b32 v5, v5, 9, v11
	v_cvt_f64_f32_e32 v[14:15], v14
	v_cmp_eq_u32_e32 vcc, s10, v12
	v_cndmask_b32_e32 v5, v16, v5, vcc
	v_lshrrev_b32_e32 v12, 16, v13
	v_and_or_b32 v5, v12, s11, v5
	v_mul_f64 v[12:13], v[14:15], s[2:3]
	v_and_b32_e32 v0, 0xffff, v0
	v_add_co_u32_e32 v14, vcc, s4, v9
	v_lshl_or_b32 v0, v5, 16, v0
	v_addc_co_u32_e32 v15, vcc, v10, v3, vcc
	global_store_dword v[14:15], v0, off
	v_and_or_b32 v0, v13, s6, v12
	v_cmp_ne_u32_e32 vcc, 0, v0
	v_cndmask_b32_e64 v0, 0, 1, vcc
	v_lshrrev_b32_e32 v5, 8, v13
	v_bfe_u32 v9, v13, 20, 11
	v_and_or_b32 v0, v5, s7, v0
	v_sub_u32_e32 v10, 0x3f1, v9
	v_or_b32_e32 v5, 0x1000, v0
	v_med3_i32 v10, v10, 0, 13
	v_lshrrev_b32_e32 v12, v10, v5
	v_lshlrev_b32_e32 v10, v10, v12
	v_cmp_ne_u32_e32 vcc, v10, v5
	v_mul_f16_sdwa v7, v49, v7 dst_sel:DWORD dst_unused:UNUSED_PAD src0_sel:WORD_1 src1_sel:DWORD
	v_cndmask_b32_e64 v5, 0, 1, vcc
	v_fma_f16 v7, v49, v17, -v7
	v_or_b32_e32 v5, v12, v5
	v_add_u32_e32 v12, 0xfffffc10, v9
	v_cvt_f32_f16_e32 v7, v7
	v_lshl_or_b32 v9, v12, 12, v0
	v_cmp_gt_i32_e32 vcc, 1, v12
	v_cndmask_b32_e32 v5, v9, v5, vcc
	v_and_b32_e32 v9, 7, v5
	v_cmp_lt_i32_e32 vcc, 5, v9
	v_cmp_eq_u32_e64 s[0:1], 3, v9
	v_cvt_f64_f32_e32 v[9:10], v7
	v_lshrrev_b32_e32 v5, 2, v5
	s_or_b64 vcc, s[0:1], vcc
	v_addc_co_u32_e32 v5, vcc, 0, v5, vcc
	v_mul_f64 v[16:17], v[9:10], s[2:3]
	v_cmp_gt_i32_e32 vcc, 31, v12
	v_cndmask_b32_e32 v5, v11, v5, vcc
	v_cmp_ne_u32_e32 vcc, 0, v0
	v_cndmask_b32_e64 v0, 0, 1, vcc
	v_lshl_or_b32 v0, v0, 9, v11
	v_cmp_eq_u32_e32 vcc, s10, v12
	v_cndmask_b32_e32 v0, v5, v0, vcc
	v_lshrrev_b32_e32 v5, 16, v13
	v_and_or_b32 v0, v5, s11, v0
	v_and_or_b32 v5, v17, s6, v16
	v_cmp_ne_u32_e32 vcc, 0, v5
	v_cndmask_b32_e64 v5, 0, 1, vcc
	v_lshrrev_b32_e32 v7, 8, v17
	v_bfe_u32 v9, v17, 20, 11
	v_and_or_b32 v5, v7, s7, v5
	v_sub_u32_e32 v10, 0x3f1, v9
	v_or_b32_e32 v7, 0x1000, v5
	v_med3_i32 v10, v10, 0, 13
	v_lshrrev_b32_e32 v12, v10, v7
	v_lshlrev_b32_e32 v10, v10, v12
	v_cmp_ne_u32_e32 vcc, v10, v7
	v_cndmask_b32_e64 v7, 0, 1, vcc
	v_add_u32_e32 v16, 0xfffffc10, v9
	v_or_b32_e32 v7, v12, v7
	v_lshl_or_b32 v9, v16, 12, v5
	v_cmp_gt_i32_e32 vcc, 1, v16
	v_cndmask_b32_e32 v7, v9, v7, vcc
	v_and_b32_e32 v9, 7, v7
	v_cmp_lt_i32_e32 vcc, 5, v9
	v_cmp_eq_u32_e64 s[0:1], 3, v9
	ds_read2st64_b32 v[9:10], v47 offset0:40 offset1:44
	v_lshrrev_b32_e32 v7, 2, v7
	s_or_b64 vcc, s[0:1], vcc
	v_addc_co_u32_e32 v7, vcc, 0, v7, vcc
	s_waitcnt lgkmcnt(0)
	v_lshrrev_b32_e32 v18, 16, v9
	v_mul_f16_sdwa v12, v48, v18 dst_sel:DWORD dst_unused:UNUSED_PAD src0_sel:WORD_1 src1_sel:DWORD
	v_fma_f16 v12, v48, v9, v12
	v_cvt_f32_f16_e32 v12, v12
	v_cmp_gt_i32_e32 vcc, 31, v16
	v_cndmask_b32_e32 v7, v11, v7, vcc
	v_cmp_ne_u32_e32 vcc, 0, v5
	v_cvt_f64_f32_e32 v[12:13], v12
	v_cndmask_b32_e64 v5, 0, 1, vcc
	v_lshl_or_b32 v5, v5, 9, v11
	v_cmp_eq_u32_e32 vcc, s10, v16
	v_mul_f64 v[12:13], v[12:13], s[2:3]
	v_cndmask_b32_e32 v5, v7, v5, vcc
	v_lshrrev_b32_e32 v7, 16, v17
	v_and_or_b32 v5, v7, s11, v5
	v_and_b32_e32 v0, 0xffff, v0
	v_add_co_u32_e32 v14, vcc, s4, v14
	v_lshl_or_b32 v0, v5, 16, v0
	v_addc_co_u32_e32 v15, vcc, v15, v3, vcc
	global_store_dword v[14:15], v0, off
	v_and_or_b32 v0, v13, s6, v12
	v_cmp_ne_u32_e32 vcc, 0, v0
	v_cndmask_b32_e64 v0, 0, 1, vcc
	v_lshrrev_b32_e32 v5, 8, v13
	v_bfe_u32 v7, v13, 20, 11
	v_and_or_b32 v0, v5, s7, v0
	v_sub_u32_e32 v12, 0x3f1, v7
	v_mul_f16_sdwa v9, v48, v9 dst_sel:DWORD dst_unused:UNUSED_PAD src0_sel:WORD_1 src1_sel:DWORD
	v_or_b32_e32 v5, 0x1000, v0
	v_med3_i32 v12, v12, 0, 13
	v_fma_f16 v9, v48, v18, -v9
	v_lshrrev_b32_e32 v16, v12, v5
	v_cvt_f32_f16_e32 v9, v9
	v_lshlrev_b32_e32 v12, v12, v16
	v_cmp_ne_u32_e32 vcc, v12, v5
	v_cndmask_b32_e64 v5, 0, 1, vcc
	v_or_b32_e32 v5, v16, v5
	v_add_u32_e32 v7, 0xfffffc10, v7
	v_cvt_f64_f32_e32 v[16:17], v9
	v_lshl_or_b32 v12, v7, 12, v0
	v_cmp_gt_i32_e32 vcc, 1, v7
	v_cndmask_b32_e32 v5, v12, v5, vcc
	v_and_b32_e32 v12, 7, v5
	v_cmp_lt_i32_e32 vcc, 5, v12
	v_cmp_eq_u32_e64 s[0:1], 3, v12
	v_mul_f64 v[16:17], v[16:17], s[2:3]
	v_lshrrev_b32_e32 v5, 2, v5
	s_or_b64 vcc, s[0:1], vcc
	v_addc_co_u32_e32 v5, vcc, 0, v5, vcc
	v_cmp_gt_i32_e32 vcc, 31, v7
	v_cndmask_b32_e32 v5, v11, v5, vcc
	v_cmp_ne_u32_e32 vcc, 0, v0
	v_cndmask_b32_e64 v0, 0, 1, vcc
	v_lshl_or_b32 v0, v0, 9, v11
	v_cmp_eq_u32_e32 vcc, s10, v7
	v_cndmask_b32_e32 v0, v5, v0, vcc
	v_lshrrev_b32_e32 v5, 16, v13
	v_and_or_b32 v0, v5, s11, v0
	v_and_or_b32 v5, v17, s6, v16
	v_cmp_ne_u32_e32 vcc, 0, v5
	v_cndmask_b32_e64 v5, 0, 1, vcc
	v_lshrrev_b32_e32 v7, 8, v17
	v_bfe_u32 v9, v17, 20, 11
	v_and_or_b32 v5, v7, s7, v5
	v_sub_u32_e32 v12, 0x3f1, v9
	v_or_b32_e32 v7, 0x1000, v5
	v_med3_i32 v12, v12, 0, 13
	v_lshrrev_b32_e32 v13, v12, v7
	v_lshlrev_b32_e32 v12, v12, v13
	v_cmp_ne_u32_e32 vcc, v12, v7
	v_cndmask_b32_e64 v7, 0, 1, vcc
	v_add_u32_e32 v9, 0xfffffc10, v9
	v_or_b32_e32 v7, v13, v7
	v_lshl_or_b32 v12, v9, 12, v5
	v_cmp_gt_i32_e32 vcc, 1, v9
	v_cndmask_b32_e32 v7, v12, v7, vcc
	v_and_b32_e32 v12, 7, v7
	v_lshrrev_b32_e32 v16, 16, v2
	v_cmp_lt_i32_e32 vcc, 5, v12
	v_cmp_eq_u32_e64 s[0:1], 3, v12
	v_mul_f16_sdwa v12, v46, v16 dst_sel:DWORD dst_unused:UNUSED_PAD src0_sel:WORD_1 src1_sel:DWORD
	v_fma_f16 v12, v46, v2, v12
	v_cvt_f32_f16_e32 v12, v12
	v_lshrrev_b32_e32 v7, 2, v7
	s_or_b64 vcc, s[0:1], vcc
	v_addc_co_u32_e32 v7, vcc, 0, v7, vcc
	v_cvt_f64_f32_e32 v[12:13], v12
	v_cmp_gt_i32_e32 vcc, 31, v9
	v_cndmask_b32_e32 v7, v11, v7, vcc
	v_cmp_ne_u32_e32 vcc, 0, v5
	v_mul_f64 v[12:13], v[12:13], s[2:3]
	v_cndmask_b32_e64 v5, 0, 1, vcc
	v_lshl_or_b32 v5, v5, 9, v11
	v_cmp_eq_u32_e32 vcc, s10, v9
	v_cndmask_b32_e32 v5, v7, v5, vcc
	v_lshrrev_b32_e32 v7, 16, v17
	v_and_or_b32 v5, v7, s11, v5
	v_and_b32_e32 v0, 0xffff, v0
	v_add_co_u32_e32 v14, vcc, s4, v14
	v_lshl_or_b32 v0, v5, 16, v0
	v_addc_co_u32_e32 v15, vcc, v15, v3, vcc
	global_store_dword v[14:15], v0, off
	v_and_or_b32 v0, v13, s6, v12
	v_cmp_ne_u32_e32 vcc, 0, v0
	v_cndmask_b32_e64 v0, 0, 1, vcc
	v_lshrrev_b32_e32 v5, 8, v13
	v_bfe_u32 v7, v13, 20, 11
	v_mul_f16_sdwa v2, v46, v2 dst_sel:DWORD dst_unused:UNUSED_PAD src0_sel:WORD_1 src1_sel:DWORD
	v_and_or_b32 v0, v5, s7, v0
	v_sub_u32_e32 v9, 0x3f1, v7
	v_fma_f16 v2, v46, v16, -v2
	v_or_b32_e32 v5, 0x1000, v0
	v_med3_i32 v9, v9, 0, 13
	v_cvt_f32_f16_e32 v2, v2
	v_lshrrev_b32_e32 v12, v9, v5
	v_lshlrev_b32_e32 v9, v9, v12
	v_cmp_ne_u32_e32 vcc, v9, v5
	v_cndmask_b32_e64 v5, 0, 1, vcc
	v_add_u32_e32 v7, 0xfffffc10, v7
	v_cvt_f64_f32_e32 v[16:17], v2
	v_or_b32_e32 v5, v12, v5
	v_lshl_or_b32 v9, v7, 12, v0
	v_cmp_gt_i32_e32 vcc, 1, v7
	v_cndmask_b32_e32 v5, v9, v5, vcc
	v_and_b32_e32 v9, 7, v5
	v_cmp_lt_i32_e32 vcc, 5, v9
	v_cmp_eq_u32_e64 s[0:1], 3, v9
	v_mul_f64 v[16:17], v[16:17], s[2:3]
	v_lshrrev_b32_e32 v5, 2, v5
	s_or_b64 vcc, s[0:1], vcc
	v_addc_co_u32_e32 v2, vcc, 0, v5, vcc
	v_cmp_gt_i32_e32 vcc, 31, v7
	v_cndmask_b32_e32 v2, v11, v2, vcc
	v_cmp_ne_u32_e32 vcc, 0, v0
	v_cndmask_b32_e64 v0, 0, 1, vcc
	v_lshl_or_b32 v0, v0, 9, v11
	v_cmp_eq_u32_e32 vcc, s10, v7
	v_cndmask_b32_e32 v0, v2, v0, vcc
	v_lshrrev_b32_e32 v2, 16, v13
	v_and_or_b32 v0, v2, s11, v0
	v_and_or_b32 v2, v17, s6, v16
	v_cmp_ne_u32_e32 vcc, 0, v2
	v_cndmask_b32_e64 v2, 0, 1, vcc
	v_lshrrev_b32_e32 v5, 8, v17
	v_bfe_u32 v7, v17, 20, 11
	v_and_or_b32 v2, v5, s7, v2
	v_sub_u32_e32 v9, 0x3f1, v7
	v_or_b32_e32 v5, 0x1000, v2
	v_med3_i32 v9, v9, 0, 13
	v_lshrrev_b32_e32 v12, v9, v5
	v_lshlrev_b32_e32 v9, v9, v12
	v_cmp_ne_u32_e32 vcc, v9, v5
	v_cndmask_b32_e64 v5, 0, 1, vcc
	v_add_u32_e32 v7, 0xfffffc10, v7
	v_or_b32_e32 v5, v12, v5
	v_lshl_or_b32 v9, v7, 12, v2
	v_cmp_gt_i32_e32 vcc, 1, v7
	v_cndmask_b32_e32 v5, v9, v5, vcc
	v_and_b32_e32 v9, 7, v5
	v_cmp_lt_i32_e32 vcc, 5, v9
	v_cmp_eq_u32_e64 s[0:1], 3, v9
	v_lshrrev_b32_e32 v9, 16, v4
	v_mul_f16_sdwa v12, v44, v9 dst_sel:DWORD dst_unused:UNUSED_PAD src0_sel:WORD_1 src1_sel:DWORD
	v_fma_f16 v12, v44, v4, v12
	v_cvt_f32_f16_e32 v12, v12
	v_lshrrev_b32_e32 v5, 2, v5
	s_or_b64 vcc, s[0:1], vcc
	v_addc_co_u32_e32 v5, vcc, 0, v5, vcc
	v_cvt_f64_f32_e32 v[12:13], v12
	v_cmp_gt_i32_e32 vcc, 31, v7
	v_cndmask_b32_e32 v5, v11, v5, vcc
	v_cmp_ne_u32_e32 vcc, 0, v2
	v_mul_f64 v[12:13], v[12:13], s[2:3]
	v_cndmask_b32_e64 v2, 0, 1, vcc
	v_mad_u64_u32 v[14:15], s[0:1], s8, v45, v[14:15]
	v_lshl_or_b32 v2, v2, 9, v11
	v_cmp_eq_u32_e32 vcc, s10, v7
	v_cndmask_b32_e32 v2, v5, v2, vcc
	v_lshrrev_b32_e32 v5, 16, v17
	s_mul_i32 s0, s9, 0xffffdc00
	v_and_or_b32 v2, v5, s11, v2
	v_and_b32_e32 v0, 0xffff, v0
	s_sub_i32 s0, s0, s8
	v_lshl_or_b32 v0, v2, 16, v0
	v_add_u32_e32 v15, s0, v15
	global_store_dword v[14:15], v0, off
	v_and_or_b32 v0, v13, s6, v12
	v_cmp_ne_u32_e32 vcc, 0, v0
	v_cndmask_b32_e64 v0, 0, 1, vcc
	v_lshrrev_b32_e32 v2, 8, v13
	v_bfe_u32 v5, v13, 20, 11
	v_and_or_b32 v0, v2, s7, v0
	v_sub_u32_e32 v7, 0x3f1, v5
	v_or_b32_e32 v2, 0x1000, v0
	v_med3_i32 v7, v7, 0, 13
	v_lshrrev_b32_e32 v12, v7, v2
	v_lshlrev_b32_e32 v7, v7, v12
	v_mul_f16_sdwa v4, v44, v4 dst_sel:DWORD dst_unused:UNUSED_PAD src0_sel:WORD_1 src1_sel:DWORD
	v_cmp_ne_u32_e32 vcc, v7, v2
	v_fma_f16 v4, v44, v9, -v4
	v_cndmask_b32_e64 v2, 0, 1, vcc
	v_add_u32_e32 v7, 0xfffffc10, v5
	v_cvt_f32_f16_e32 v4, v4
	v_or_b32_e32 v2, v12, v2
	v_lshl_or_b32 v5, v7, 12, v0
	v_cmp_gt_i32_e32 vcc, 1, v7
	v_cndmask_b32_e32 v2, v5, v2, vcc
	v_and_b32_e32 v5, 7, v2
	v_cmp_lt_i32_e32 vcc, 5, v5
	v_cmp_eq_u32_e64 s[0:1], 3, v5
	v_cvt_f64_f32_e32 v[4:5], v4
	v_lshrrev_b32_e32 v2, 2, v2
	s_or_b64 vcc, s[0:1], vcc
	v_addc_co_u32_e32 v2, vcc, 0, v2, vcc
	v_mul_f64 v[4:5], v[4:5], s[2:3]
	v_cmp_gt_i32_e32 vcc, 31, v7
	v_cndmask_b32_e32 v2, v11, v2, vcc
	v_cmp_ne_u32_e32 vcc, 0, v0
	v_cndmask_b32_e64 v0, 0, 1, vcc
	v_lshl_or_b32 v0, v0, 9, v11
	v_cmp_eq_u32_e32 vcc, s10, v7
	v_cndmask_b32_e32 v0, v2, v0, vcc
	v_lshrrev_b32_e32 v2, 16, v13
	v_and_or_b32 v0, v2, s11, v0
	v_and_or_b32 v2, v5, s6, v4
	v_cmp_ne_u32_e32 vcc, 0, v2
	v_cndmask_b32_e64 v2, 0, 1, vcc
	v_lshrrev_b32_e32 v4, 8, v5
	v_bfe_u32 v7, v5, 20, 11
	v_and_or_b32 v2, v4, s7, v2
	v_sub_u32_e32 v9, 0x3f1, v7
	v_or_b32_e32 v4, 0x1000, v2
	v_med3_i32 v9, v9, 0, 13
	v_lshrrev_b32_e32 v12, v9, v4
	v_lshlrev_b32_e32 v9, v9, v12
	v_cmp_ne_u32_e32 vcc, v9, v4
	v_cndmask_b32_e64 v4, 0, 1, vcc
	v_add_u32_e32 v7, 0xfffffc10, v7
	v_or_b32_e32 v4, v12, v4
	v_lshl_or_b32 v9, v7, 12, v2
	v_cmp_gt_i32_e32 vcc, 1, v7
	v_cndmask_b32_e32 v4, v9, v4, vcc
	v_and_b32_e32 v9, 7, v4
	v_cmp_lt_i32_e32 vcc, 5, v9
	v_cmp_eq_u32_e64 s[0:1], 3, v9
	v_lshrrev_b32_e32 v9, 16, v1
	v_mul_f16_sdwa v12, v43, v9 dst_sel:DWORD dst_unused:UNUSED_PAD src0_sel:WORD_1 src1_sel:DWORD
	v_fma_f16 v12, v43, v1, v12
	v_cvt_f32_f16_e32 v12, v12
	v_lshrrev_b32_e32 v4, 2, v4
	s_or_b64 vcc, s[0:1], vcc
	v_addc_co_u32_e32 v4, vcc, 0, v4, vcc
	v_cmp_gt_i32_e32 vcc, 31, v7
	v_cndmask_b32_e32 v4, v11, v4, vcc
	v_cmp_ne_u32_e32 vcc, 0, v2
	v_cvt_f64_f32_e32 v[12:13], v12
	v_cndmask_b32_e64 v2, 0, 1, vcc
	v_lshl_or_b32 v2, v2, 9, v11
	v_cmp_eq_u32_e32 vcc, s10, v7
	v_cndmask_b32_e32 v2, v4, v2, vcc
	v_lshrrev_b32_e32 v4, 16, v5
	v_and_or_b32 v2, v4, s11, v2
	v_mul_f64 v[4:5], v[12:13], s[2:3]
	v_and_b32_e32 v0, 0xffff, v0
	v_add_co_u32_e32 v12, vcc, s4, v14
	v_lshl_or_b32 v0, v2, 16, v0
	v_addc_co_u32_e32 v13, vcc, v15, v3, vcc
	global_store_dword v[12:13], v0, off
	v_and_or_b32 v0, v5, s6, v4
	v_cmp_ne_u32_e32 vcc, 0, v0
	v_cndmask_b32_e64 v0, 0, 1, vcc
	v_lshrrev_b32_e32 v2, 8, v5
	v_bfe_u32 v4, v5, 20, 11
	v_and_or_b32 v2, v2, s7, v0
	v_sub_u32_e32 v7, 0x3f1, v4
	v_or_b32_e32 v0, 0x1000, v2
	v_med3_i32 v7, v7, 0, 13
	v_lshrrev_b32_e32 v14, v7, v0
	v_lshlrev_b32_e32 v7, v7, v14
	v_mul_f16_sdwa v1, v43, v1 dst_sel:DWORD dst_unused:UNUSED_PAD src0_sel:WORD_1 src1_sel:DWORD
	v_cmp_ne_u32_e32 vcc, v7, v0
	v_fma_f16 v1, v43, v9, -v1
	v_cndmask_b32_e64 v0, 0, 1, vcc
	v_add_u32_e32 v4, 0xfffffc10, v4
	v_cvt_f32_f16_e32 v1, v1
	v_or_b32_e32 v0, v14, v0
	v_lshl_or_b32 v7, v4, 12, v2
	v_cmp_gt_i32_e32 vcc, 1, v4
	v_cndmask_b32_e32 v0, v7, v0, vcc
	v_and_b32_e32 v7, 7, v0
	v_cmp_lt_i32_e32 vcc, 5, v7
	v_cmp_eq_u32_e64 s[0:1], 3, v7
	v_lshrrev_b32_e32 v7, 2, v0
	v_cvt_f64_f32_e32 v[0:1], v1
	s_or_b64 vcc, s[0:1], vcc
	v_addc_co_u32_e32 v7, vcc, 0, v7, vcc
	v_mul_f64 v[0:1], v[0:1], s[2:3]
	v_cmp_gt_i32_e32 vcc, 31, v4
	v_cndmask_b32_e32 v7, v11, v7, vcc
	v_cmp_ne_u32_e32 vcc, 0, v2
	v_cndmask_b32_e64 v2, 0, 1, vcc
	v_lshl_or_b32 v2, v2, 9, v11
	v_cmp_eq_u32_e32 vcc, s10, v4
	v_cndmask_b32_e32 v2, v7, v2, vcc
	v_and_or_b32 v0, v1, s6, v0
	v_lshrrev_b32_e32 v4, 16, v5
	v_cmp_ne_u32_e32 vcc, 0, v0
	v_and_or_b32 v2, v4, s11, v2
	v_cndmask_b32_e64 v0, 0, 1, vcc
	v_lshrrev_b32_e32 v4, 8, v1
	v_bfe_u32 v5, v1, 20, 11
	v_and_or_b32 v0, v4, s7, v0
	v_sub_u32_e32 v7, 0x3f1, v5
	v_or_b32_e32 v4, 0x1000, v0
	v_med3_i32 v7, v7, 0, 13
	v_lshrrev_b32_e32 v9, v7, v4
	v_lshlrev_b32_e32 v7, v7, v9
	v_cmp_ne_u32_e32 vcc, v7, v4
	v_cndmask_b32_e64 v4, 0, 1, vcc
	v_add_u32_e32 v7, 0xfffffc10, v5
	v_or_b32_e32 v4, v9, v4
	v_lshl_or_b32 v5, v7, 12, v0
	v_cmp_gt_i32_e32 vcc, 1, v7
	v_cndmask_b32_e32 v4, v5, v4, vcc
	v_and_b32_e32 v5, 7, v4
	v_cmp_lt_i32_e32 vcc, 5, v5
	v_cmp_eq_u32_e64 s[0:1], 3, v5
	v_lshrrev_b32_e32 v4, 2, v4
	s_or_b64 vcc, s[0:1], vcc
	v_addc_co_u32_e32 v4, vcc, 0, v4, vcc
	v_cmp_gt_i32_e32 vcc, 31, v7
	v_lshrrev_b32_e32 v14, 16, v6
	v_cndmask_b32_e32 v9, v11, v4, vcc
	v_mul_f16_sdwa v4, v42, v14 dst_sel:DWORD dst_unused:UNUSED_PAD src0_sel:WORD_1 src1_sel:DWORD
	v_fma_f16 v4, v42, v6, v4
	v_cvt_f32_f16_e32 v4, v4
	v_cmp_ne_u32_e32 vcc, 0, v0
	v_cndmask_b32_e64 v0, 0, 1, vcc
	v_lshl_or_b32 v0, v0, 9, v11
	v_cvt_f64_f32_e32 v[4:5], v4
	v_cmp_eq_u32_e32 vcc, s10, v7
	v_cndmask_b32_e32 v0, v9, v0, vcc
	v_lshrrev_b32_e32 v1, 16, v1
	v_and_or_b32 v7, v1, s11, v0
	v_mul_f64 v[0:1], v[4:5], s[2:3]
	v_add_co_u32_e32 v4, vcc, s4, v12
	v_and_b32_e32 v2, 0xffff, v2
	v_addc_co_u32_e32 v5, vcc, v13, v3, vcc
	v_lshl_or_b32 v2, v7, 16, v2
	global_store_dword v[4:5], v2, off
	v_and_or_b32 v0, v1, s6, v0
	v_cmp_ne_u32_e32 vcc, 0, v0
	v_cndmask_b32_e64 v0, 0, 1, vcc
	v_lshrrev_b32_e32 v2, 8, v1
	v_bfe_u32 v7, v1, 20, 11
	v_and_or_b32 v0, v2, s7, v0
	v_sub_u32_e32 v9, 0x3f1, v7
	v_or_b32_e32 v2, 0x1000, v0
	v_med3_i32 v9, v9, 0, 13
	v_lshrrev_b32_e32 v12, v9, v2
	v_lshlrev_b32_e32 v9, v9, v12
	v_mul_f16_sdwa v6, v42, v6 dst_sel:DWORD dst_unused:UNUSED_PAD src0_sel:WORD_1 src1_sel:DWORD
	v_cmp_ne_u32_e32 vcc, v9, v2
	v_fma_f16 v6, v42, v14, -v6
	v_cndmask_b32_e64 v2, 0, 1, vcc
	v_add_u32_e32 v9, 0xfffffc10, v7
	v_cvt_f32_f16_e32 v6, v6
	v_or_b32_e32 v2, v12, v2
	v_lshl_or_b32 v7, v9, 12, v0
	v_cmp_gt_i32_e32 vcc, 1, v9
	v_cndmask_b32_e32 v2, v7, v2, vcc
	v_and_b32_e32 v7, 7, v2
	v_cmp_lt_i32_e32 vcc, 5, v7
	v_cmp_eq_u32_e64 s[0:1], 3, v7
	v_cvt_f64_f32_e32 v[6:7], v6
	v_lshrrev_b32_e32 v2, 2, v2
	s_or_b64 vcc, s[0:1], vcc
	v_addc_co_u32_e32 v2, vcc, 0, v2, vcc
	v_mul_f64 v[6:7], v[6:7], s[2:3]
	v_cmp_gt_i32_e32 vcc, 31, v9
	v_cndmask_b32_e32 v2, v11, v2, vcc
	v_cmp_ne_u32_e32 vcc, 0, v0
	v_cndmask_b32_e64 v0, 0, 1, vcc
	v_lshl_or_b32 v0, v0, 9, v11
	v_cmp_eq_u32_e32 vcc, s10, v9
	v_cndmask_b32_e32 v0, v2, v0, vcc
	v_lshrrev_b32_e32 v1, 16, v1
	v_and_or_b32 v2, v1, s11, v0
	v_and_or_b32 v0, v7, s6, v6
	v_cmp_ne_u32_e32 vcc, 0, v0
	v_cndmask_b32_e64 v0, 0, 1, vcc
	v_lshrrev_b32_e32 v1, 8, v7
	v_bfe_u32 v6, v7, 20, 11
	v_and_or_b32 v0, v1, s7, v0
	v_sub_u32_e32 v9, 0x3f1, v6
	v_or_b32_e32 v1, 0x1000, v0
	v_med3_i32 v9, v9, 0, 13
	v_lshrrev_b32_e32 v12, v9, v1
	v_lshlrev_b32_e32 v9, v9, v12
	v_cmp_ne_u32_e32 vcc, v9, v1
	v_cndmask_b32_e64 v1, 0, 1, vcc
	v_add_u32_e32 v6, 0xfffffc10, v6
	v_or_b32_e32 v1, v12, v1
	v_lshl_or_b32 v9, v6, 12, v0
	v_cmp_gt_i32_e32 vcc, 1, v6
	v_cndmask_b32_e32 v1, v9, v1, vcc
	v_and_b32_e32 v9, 7, v1
	v_cmp_lt_i32_e32 vcc, 5, v9
	v_cmp_eq_u32_e64 s[0:1], 3, v9
	v_lshrrev_b32_e32 v1, 2, v1
	s_or_b64 vcc, s[0:1], vcc
	v_addc_co_u32_e32 v1, vcc, 0, v1, vcc
	v_cmp_gt_i32_e32 vcc, 31, v6
	v_lshrrev_b32_e32 v12, 16, v8
	v_cndmask_b32_e32 v9, v11, v1, vcc
	v_mul_f16_sdwa v1, v41, v12 dst_sel:DWORD dst_unused:UNUSED_PAD src0_sel:WORD_1 src1_sel:DWORD
	v_fma_f16 v1, v41, v8, v1
	v_cvt_f32_f16_e32 v1, v1
	v_cmp_ne_u32_e32 vcc, 0, v0
	v_cndmask_b32_e64 v0, 0, 1, vcc
	v_lshl_or_b32 v13, v0, 9, v11
	v_cvt_f64_f32_e32 v[0:1], v1
	v_cmp_eq_u32_e32 vcc, s10, v6
	v_cndmask_b32_e32 v6, v9, v13, vcc
	v_lshrrev_b32_e32 v7, 16, v7
	v_mul_f64 v[0:1], v[0:1], s[2:3]
	v_add_co_u32_e32 v4, vcc, s4, v4
	v_and_or_b32 v6, v7, s11, v6
	v_and_b32_e32 v2, 0xffff, v2
	v_addc_co_u32_e32 v5, vcc, v5, v3, vcc
	v_lshl_or_b32 v2, v6, 16, v2
	v_and_or_b32 v0, v1, s6, v0
	v_cmp_ne_u32_e32 vcc, 0, v0
	global_store_dword v[4:5], v2, off
	v_cndmask_b32_e64 v0, 0, 1, vcc
	v_lshrrev_b32_e32 v2, 8, v1
	v_bfe_u32 v6, v1, 20, 11
	v_and_or_b32 v0, v2, s7, v0
	v_sub_u32_e32 v7, 0x3f1, v6
	v_or_b32_e32 v2, 0x1000, v0
	v_med3_i32 v7, v7, 0, 13
	v_lshrrev_b32_e32 v9, v7, v2
	v_lshlrev_b32_e32 v7, v7, v9
	v_cmp_ne_u32_e32 vcc, v7, v2
	v_mul_f16_sdwa v7, v41, v8 dst_sel:DWORD dst_unused:UNUSED_PAD src0_sel:WORD_1 src1_sel:DWORD
	v_cndmask_b32_e64 v2, 0, 1, vcc
	v_fma_f16 v7, v41, v12, -v7
	v_or_b32_e32 v2, v9, v2
	v_add_u32_e32 v9, 0xfffffc10, v6
	v_cvt_f32_f16_e32 v7, v7
	v_lshl_or_b32 v6, v9, 12, v0
	v_cmp_gt_i32_e32 vcc, 1, v9
	v_cndmask_b32_e32 v2, v6, v2, vcc
	v_and_b32_e32 v6, 7, v2
	v_cmp_lt_i32_e32 vcc, 5, v6
	v_cmp_eq_u32_e64 s[0:1], 3, v6
	v_cvt_f64_f32_e32 v[6:7], v7
	v_lshrrev_b32_e32 v2, 2, v2
	s_or_b64 vcc, s[0:1], vcc
	v_addc_co_u32_e32 v2, vcc, 0, v2, vcc
	v_mul_f64 v[6:7], v[6:7], s[2:3]
	v_cmp_gt_i32_e32 vcc, 31, v9
	v_cndmask_b32_e32 v2, v11, v2, vcc
	v_cmp_ne_u32_e32 vcc, 0, v0
	v_cndmask_b32_e64 v0, 0, 1, vcc
	v_lshl_or_b32 v0, v0, 9, v11
	v_cmp_eq_u32_e32 vcc, s10, v9
	v_cndmask_b32_e32 v0, v2, v0, vcc
	v_lshrrev_b32_e32 v1, 16, v1
	v_and_or_b32 v2, v1, s11, v0
	v_and_or_b32 v0, v7, s6, v6
	v_cmp_ne_u32_e32 vcc, 0, v0
	v_cndmask_b32_e64 v0, 0, 1, vcc
	v_lshrrev_b32_e32 v1, 8, v7
	v_bfe_u32 v6, v7, 20, 11
	v_and_or_b32 v0, v1, s7, v0
	v_sub_u32_e32 v8, 0x3f1, v6
	v_or_b32_e32 v1, 0x1000, v0
	v_med3_i32 v8, v8, 0, 13
	v_lshrrev_b32_e32 v9, v8, v1
	v_lshlrev_b32_e32 v8, v8, v9
	v_cmp_ne_u32_e32 vcc, v8, v1
	v_cndmask_b32_e64 v1, 0, 1, vcc
	v_add_u32_e32 v6, 0xfffffc10, v6
	v_or_b32_e32 v1, v9, v1
	v_lshl_or_b32 v8, v6, 12, v0
	v_cmp_gt_i32_e32 vcc, 1, v6
	v_cndmask_b32_e32 v1, v8, v1, vcc
	v_and_b32_e32 v8, 7, v1
	v_cmp_lt_i32_e32 vcc, 5, v8
	v_cmp_eq_u32_e64 s[0:1], 3, v8
	v_lshrrev_b32_e32 v1, 2, v1
	s_or_b64 vcc, s[0:1], vcc
	v_addc_co_u32_e32 v1, vcc, 0, v1, vcc
	v_cmp_gt_i32_e32 vcc, 31, v6
	v_lshrrev_b32_e32 v9, 16, v10
	v_cndmask_b32_e32 v8, v11, v1, vcc
	v_mul_f16_sdwa v1, v40, v9 dst_sel:DWORD dst_unused:UNUSED_PAD src0_sel:WORD_1 src1_sel:DWORD
	v_fma_f16 v1, v40, v10, v1
	v_cvt_f32_f16_e32 v1, v1
	v_cmp_ne_u32_e32 vcc, 0, v0
	v_cndmask_b32_e64 v0, 0, 1, vcc
	v_lshl_or_b32 v12, v0, 9, v11
	v_cvt_f64_f32_e32 v[0:1], v1
	v_cmp_eq_u32_e32 vcc, s10, v6
	v_cndmask_b32_e32 v6, v8, v12, vcc
	v_lshrrev_b32_e32 v7, 16, v7
	v_mul_f64 v[0:1], v[0:1], s[2:3]
	v_add_co_u32_e32 v4, vcc, s4, v4
	v_and_or_b32 v6, v7, s11, v6
	v_and_b32_e32 v2, 0xffff, v2
	v_addc_co_u32_e32 v5, vcc, v5, v3, vcc
	v_lshl_or_b32 v2, v6, 16, v2
	v_and_or_b32 v0, v1, s6, v0
	v_cmp_ne_u32_e32 vcc, 0, v0
	global_store_dword v[4:5], v2, off
	v_cndmask_b32_e64 v0, 0, 1, vcc
	v_lshrrev_b32_e32 v2, 8, v1
	v_bfe_u32 v6, v1, 20, 11
	v_and_or_b32 v0, v2, s7, v0
	v_sub_u32_e32 v7, 0x3f1, v6
	v_or_b32_e32 v2, 0x1000, v0
	v_med3_i32 v7, v7, 0, 13
	v_lshrrev_b32_e32 v8, v7, v2
	v_lshlrev_b32_e32 v7, v7, v8
	v_cmp_ne_u32_e32 vcc, v7, v2
	v_mul_f16_sdwa v7, v40, v10 dst_sel:DWORD dst_unused:UNUSED_PAD src0_sel:WORD_1 src1_sel:DWORD
	v_cndmask_b32_e64 v2, 0, 1, vcc
	v_fma_f16 v7, v40, v9, -v7
	v_or_b32_e32 v2, v8, v2
	v_add_u32_e32 v8, 0xfffffc10, v6
	v_cvt_f32_f16_e32 v7, v7
	v_lshl_or_b32 v6, v8, 12, v0
	v_cmp_gt_i32_e32 vcc, 1, v8
	v_cndmask_b32_e32 v2, v6, v2, vcc
	v_and_b32_e32 v6, 7, v2
	v_cmp_lt_i32_e32 vcc, 5, v6
	v_cmp_eq_u32_e64 s[0:1], 3, v6
	v_cvt_f64_f32_e32 v[6:7], v7
	v_lshrrev_b32_e32 v2, 2, v2
	s_or_b64 vcc, s[0:1], vcc
	v_addc_co_u32_e32 v2, vcc, 0, v2, vcc
	v_mul_f64 v[6:7], v[6:7], s[2:3]
	v_cmp_gt_i32_e32 vcc, 31, v8
	v_cndmask_b32_e32 v2, v11, v2, vcc
	v_cmp_ne_u32_e32 vcc, 0, v0
	v_cndmask_b32_e64 v0, 0, 1, vcc
	v_lshl_or_b32 v0, v0, 9, v11
	v_cmp_eq_u32_e32 vcc, s10, v8
	v_cndmask_b32_e32 v0, v2, v0, vcc
	v_lshrrev_b32_e32 v1, 16, v1
	v_and_or_b32 v0, v1, s11, v0
	v_and_or_b32 v1, v7, s6, v6
	v_cmp_ne_u32_e32 vcc, 0, v1
	v_cndmask_b32_e64 v1, 0, 1, vcc
	v_lshrrev_b32_e32 v2, 8, v7
	v_bfe_u32 v6, v7, 20, 11
	v_and_or_b32 v1, v2, s7, v1
	v_sub_u32_e32 v8, 0x3f1, v6
	v_or_b32_e32 v2, 0x1000, v1
	v_med3_i32 v8, v8, 0, 13
	v_lshrrev_b32_e32 v9, v8, v2
	v_lshlrev_b32_e32 v8, v8, v9
	v_cmp_ne_u32_e32 vcc, v8, v2
	v_cndmask_b32_e64 v2, 0, 1, vcc
	v_add_u32_e32 v6, 0xfffffc10, v6
	v_or_b32_e32 v2, v9, v2
	v_lshl_or_b32 v8, v6, 12, v1
	v_cmp_gt_i32_e32 vcc, 1, v6
	v_cndmask_b32_e32 v2, v8, v2, vcc
	v_and_b32_e32 v8, 7, v2
	v_cmp_lt_i32_e32 vcc, 5, v8
	v_cmp_eq_u32_e64 s[0:1], 3, v8
	v_lshrrev_b32_e32 v2, 2, v2
	s_or_b64 vcc, s[0:1], vcc
	v_addc_co_u32_e32 v2, vcc, 0, v2, vcc
	v_cmp_gt_i32_e32 vcc, 31, v6
	v_cndmask_b32_e32 v2, v11, v2, vcc
	v_cmp_ne_u32_e32 vcc, 0, v1
	v_cndmask_b32_e64 v1, 0, 1, vcc
	v_lshl_or_b32 v1, v1, 9, v11
	v_cmp_eq_u32_e32 vcc, s10, v6
	v_cndmask_b32_e32 v1, v2, v1, vcc
	v_lshrrev_b32_e32 v2, 16, v7
	v_and_or_b32 v1, v2, s11, v1
	v_and_b32_e32 v0, 0xffff, v0
	v_lshl_or_b32 v2, v1, 16, v0
	v_add_co_u32_e32 v0, vcc, s4, v4
	v_addc_co_u32_e32 v1, vcc, v5, v3, vcc
	global_store_dword v[0:1], v2, off
.LBB0_2:
	s_endpgm
	.section	.rodata,"a",@progbits
	.p2align	6, 0x0
	.amdhsa_kernel bluestein_single_fwd_len3072_dim1_half_op_CI_CI
		.amdhsa_group_segment_fixed_size 12288
		.amdhsa_private_segment_fixed_size 0
		.amdhsa_kernarg_size 104
		.amdhsa_user_sgpr_count 6
		.amdhsa_user_sgpr_private_segment_buffer 1
		.amdhsa_user_sgpr_dispatch_ptr 0
		.amdhsa_user_sgpr_queue_ptr 0
		.amdhsa_user_sgpr_kernarg_segment_ptr 1
		.amdhsa_user_sgpr_dispatch_id 0
		.amdhsa_user_sgpr_flat_scratch_init 0
		.amdhsa_user_sgpr_private_segment_size 0
		.amdhsa_uses_dynamic_stack 0
		.amdhsa_system_sgpr_private_segment_wavefront_offset 0
		.amdhsa_system_sgpr_workgroup_id_x 1
		.amdhsa_system_sgpr_workgroup_id_y 0
		.amdhsa_system_sgpr_workgroup_id_z 0
		.amdhsa_system_sgpr_workgroup_info 0
		.amdhsa_system_vgpr_workitem_id 0
		.amdhsa_next_free_vgpr 95
		.amdhsa_next_free_sgpr 20
		.amdhsa_reserve_vcc 1
		.amdhsa_reserve_flat_scratch 0
		.amdhsa_float_round_mode_32 0
		.amdhsa_float_round_mode_16_64 0
		.amdhsa_float_denorm_mode_32 3
		.amdhsa_float_denorm_mode_16_64 3
		.amdhsa_dx10_clamp 1
		.amdhsa_ieee_mode 1
		.amdhsa_fp16_overflow 0
		.amdhsa_exception_fp_ieee_invalid_op 0
		.amdhsa_exception_fp_denorm_src 0
		.amdhsa_exception_fp_ieee_div_zero 0
		.amdhsa_exception_fp_ieee_overflow 0
		.amdhsa_exception_fp_ieee_underflow 0
		.amdhsa_exception_fp_ieee_inexact 0
		.amdhsa_exception_int_div_zero 0
	.end_amdhsa_kernel
	.text
.Lfunc_end0:
	.size	bluestein_single_fwd_len3072_dim1_half_op_CI_CI, .Lfunc_end0-bluestein_single_fwd_len3072_dim1_half_op_CI_CI
                                        ; -- End function
	.section	.AMDGPU.csdata,"",@progbits
; Kernel info:
; codeLenInByte = 18104
; NumSgprs: 24
; NumVgprs: 95
; ScratchSize: 0
; MemoryBound: 0
; FloatMode: 240
; IeeeMode: 1
; LDSByteSize: 12288 bytes/workgroup (compile time only)
; SGPRBlocks: 2
; VGPRBlocks: 23
; NumSGPRsForWavesPerEU: 24
; NumVGPRsForWavesPerEU: 95
; Occupancy: 2
; WaveLimiterHint : 1
; COMPUTE_PGM_RSRC2:SCRATCH_EN: 0
; COMPUTE_PGM_RSRC2:USER_SGPR: 6
; COMPUTE_PGM_RSRC2:TRAP_HANDLER: 0
; COMPUTE_PGM_RSRC2:TGID_X_EN: 1
; COMPUTE_PGM_RSRC2:TGID_Y_EN: 0
; COMPUTE_PGM_RSRC2:TGID_Z_EN: 0
; COMPUTE_PGM_RSRC2:TIDIG_COMP_CNT: 0
	.type	__hip_cuid_f0387cae4f121938,@object ; @__hip_cuid_f0387cae4f121938
	.section	.bss,"aw",@nobits
	.globl	__hip_cuid_f0387cae4f121938
__hip_cuid_f0387cae4f121938:
	.byte	0                               ; 0x0
	.size	__hip_cuid_f0387cae4f121938, 1

	.ident	"AMD clang version 19.0.0git (https://github.com/RadeonOpenCompute/llvm-project roc-6.4.0 25133 c7fe45cf4b819c5991fe208aaa96edf142730f1d)"
	.section	".note.GNU-stack","",@progbits
	.addrsig
	.addrsig_sym __hip_cuid_f0387cae4f121938
	.amdgpu_metadata
---
amdhsa.kernels:
  - .args:
      - .actual_access:  read_only
        .address_space:  global
        .offset:         0
        .size:           8
        .value_kind:     global_buffer
      - .actual_access:  read_only
        .address_space:  global
        .offset:         8
        .size:           8
        .value_kind:     global_buffer
      - .actual_access:  read_only
        .address_space:  global
        .offset:         16
        .size:           8
        .value_kind:     global_buffer
      - .actual_access:  read_only
        .address_space:  global
        .offset:         24
        .size:           8
        .value_kind:     global_buffer
      - .actual_access:  read_only
        .address_space:  global
        .offset:         32
        .size:           8
        .value_kind:     global_buffer
      - .offset:         40
        .size:           8
        .value_kind:     by_value
      - .address_space:  global
        .offset:         48
        .size:           8
        .value_kind:     global_buffer
      - .address_space:  global
        .offset:         56
        .size:           8
        .value_kind:     global_buffer
      - .address_space:  global
        .offset:         64
        .size:           8
        .value_kind:     global_buffer
      - .address_space:  global
        .offset:         72
        .size:           8
        .value_kind:     global_buffer
      - .offset:         80
        .size:           4
        .value_kind:     by_value
      - .address_space:  global
        .offset:         88
        .size:           8
        .value_kind:     global_buffer
      - .address_space:  global
        .offset:         96
        .size:           8
        .value_kind:     global_buffer
    .group_segment_fixed_size: 12288
    .kernarg_segment_align: 8
    .kernarg_segment_size: 104
    .language:       OpenCL C
    .language_version:
      - 2
      - 0
    .max_flat_workgroup_size: 256
    .name:           bluestein_single_fwd_len3072_dim1_half_op_CI_CI
    .private_segment_fixed_size: 0
    .sgpr_count:     24
    .sgpr_spill_count: 0
    .symbol:         bluestein_single_fwd_len3072_dim1_half_op_CI_CI.kd
    .uniform_work_group_size: 1
    .uses_dynamic_stack: false
    .vgpr_count:     95
    .vgpr_spill_count: 0
    .wavefront_size: 64
amdhsa.target:   amdgcn-amd-amdhsa--gfx906
amdhsa.version:
  - 1
  - 2
...

	.end_amdgpu_metadata
